;; amdgpu-corpus repo=ROCm/rocFFT kind=compiled arch=gfx90a opt=O3
	.text
	.amdgcn_target "amdgcn-amd-amdhsa--gfx90a"
	.amdhsa_code_object_version 6
	.protected	fft_rtc_fwd_len2401_factors_7_7_7_7_wgs_49_tpt_49_halfLds_half_ip_CI_sbrr_dirReg ; -- Begin function fft_rtc_fwd_len2401_factors_7_7_7_7_wgs_49_tpt_49_halfLds_half_ip_CI_sbrr_dirReg
	.globl	fft_rtc_fwd_len2401_factors_7_7_7_7_wgs_49_tpt_49_halfLds_half_ip_CI_sbrr_dirReg
	.p2align	8
	.type	fft_rtc_fwd_len2401_factors_7_7_7_7_wgs_49_tpt_49_halfLds_half_ip_CI_sbrr_dirReg,@function
fft_rtc_fwd_len2401_factors_7_7_7_7_wgs_49_tpt_49_halfLds_half_ip_CI_sbrr_dirReg: ; @fft_rtc_fwd_len2401_factors_7_7_7_7_wgs_49_tpt_49_halfLds_half_ip_CI_sbrr_dirReg
; %bb.0:
	s_load_dwordx2 s[14:15], s[4:5], 0x18
	s_load_dwordx4 s[8:11], s[4:5], 0x0
	s_load_dwordx2 s[12:13], s[4:5], 0x50
	v_mul_u32_u24_e32 v1, 0x53a, v0
	v_mov_b32_e32 v4, 0
	s_waitcnt lgkmcnt(0)
	s_load_dwordx2 s[2:3], s[14:15], 0x0
	v_cmp_lt_u64_e64 s[0:1], s[10:11], 2
	v_add_u32_sdwa v6, s6, v1 dst_sel:DWORD dst_unused:UNUSED_PAD src0_sel:DWORD src1_sel:WORD_1
	v_mov_b32_e32 v7, v4
	s_and_b64 vcc, exec, s[0:1]
	v_pk_mov_b32 v[2:3], 0, 0
	s_cbranch_vccnz .LBB0_8
; %bb.1:
	s_load_dwordx2 s[0:1], s[4:5], 0x10
	s_add_u32 s6, s14, 8
	s_addc_u32 s7, s15, 0
	s_mov_b64 s[16:17], 1
	v_pk_mov_b32 v[2:3], 0, 0
	s_waitcnt lgkmcnt(0)
	s_add_u32 s18, s0, 8
	s_addc_u32 s19, s1, 0
.LBB0_2:                                ; =>This Inner Loop Header: Depth=1
	s_load_dwordx2 s[20:21], s[18:19], 0x0
                                        ; implicit-def: $vgpr8_vgpr9
	s_waitcnt lgkmcnt(0)
	v_or_b32_e32 v5, s21, v7
	v_cmp_ne_u64_e32 vcc, 0, v[4:5]
	s_and_saveexec_b64 s[0:1], vcc
	s_xor_b64 s[22:23], exec, s[0:1]
	s_cbranch_execz .LBB0_4
; %bb.3:                                ;   in Loop: Header=BB0_2 Depth=1
	v_cvt_f32_u32_e32 v1, s20
	v_cvt_f32_u32_e32 v5, s21
	s_sub_u32 s0, 0, s20
	s_subb_u32 s1, 0, s21
	v_mac_f32_e32 v1, 0x4f800000, v5
	v_rcp_f32_e32 v1, v1
	v_mul_f32_e32 v1, 0x5f7ffffc, v1
	v_mul_f32_e32 v5, 0x2f800000, v1
	v_trunc_f32_e32 v5, v5
	v_mac_f32_e32 v1, 0xcf800000, v5
	v_cvt_u32_f32_e32 v5, v5
	v_cvt_u32_f32_e32 v1, v1
	v_mul_lo_u32 v8, s0, v5
	v_mul_hi_u32 v10, s0, v1
	v_mul_lo_u32 v9, s1, v1
	v_add_u32_e32 v8, v10, v8
	v_mul_lo_u32 v11, s0, v1
	v_add_u32_e32 v8, v8, v9
	v_mul_hi_u32 v10, v1, v11
	v_mul_lo_u32 v12, v1, v8
	v_mul_hi_u32 v9, v1, v8
	v_add_co_u32_e32 v10, vcc, v10, v12
	v_addc_co_u32_e32 v9, vcc, 0, v9, vcc
	v_mul_hi_u32 v13, v5, v11
	v_mul_lo_u32 v11, v5, v11
	v_add_co_u32_e32 v10, vcc, v10, v11
	v_mul_hi_u32 v12, v5, v8
	v_addc_co_u32_e32 v9, vcc, v9, v13, vcc
	v_addc_co_u32_e32 v10, vcc, 0, v12, vcc
	v_mul_lo_u32 v8, v5, v8
	v_add_co_u32_e32 v8, vcc, v9, v8
	v_addc_co_u32_e32 v9, vcc, 0, v10, vcc
	v_add_co_u32_e32 v1, vcc, v1, v8
	v_addc_co_u32_e32 v5, vcc, v5, v9, vcc
	v_mul_lo_u32 v8, s0, v5
	v_mul_hi_u32 v9, s0, v1
	v_add_u32_e32 v8, v9, v8
	v_mul_lo_u32 v9, s1, v1
	v_add_u32_e32 v8, v8, v9
	v_mul_lo_u32 v10, s0, v1
	v_mul_hi_u32 v11, v5, v10
	v_mul_lo_u32 v12, v5, v10
	v_mul_lo_u32 v14, v1, v8
	v_mul_hi_u32 v10, v1, v10
	v_mul_hi_u32 v13, v1, v8
	v_add_co_u32_e32 v10, vcc, v10, v14
	v_addc_co_u32_e32 v13, vcc, 0, v13, vcc
	v_add_co_u32_e32 v10, vcc, v10, v12
	v_mul_hi_u32 v9, v5, v8
	v_addc_co_u32_e32 v10, vcc, v13, v11, vcc
	v_addc_co_u32_e32 v9, vcc, 0, v9, vcc
	v_mul_lo_u32 v8, v5, v8
	v_add_co_u32_e32 v8, vcc, v10, v8
	v_addc_co_u32_e32 v9, vcc, 0, v9, vcc
	v_add_co_u32_e32 v1, vcc, v1, v8
	v_addc_co_u32_e32 v5, vcc, v5, v9, vcc
	v_mad_u64_u32 v[8:9], s[0:1], v6, v5, 0
	v_mul_hi_u32 v10, v6, v1
	v_add_co_u32_e32 v12, vcc, v10, v8
	v_addc_co_u32_e32 v13, vcc, 0, v9, vcc
	v_mad_u64_u32 v[10:11], s[0:1], v7, v1, 0
	v_add_co_u32_e32 v1, vcc, v12, v10
	v_mad_u64_u32 v[8:9], s[0:1], v7, v5, 0
	v_addc_co_u32_e32 v1, vcc, v13, v11, vcc
	v_addc_co_u32_e32 v5, vcc, 0, v9, vcc
	v_add_co_u32_e32 v1, vcc, v1, v8
	v_addc_co_u32_e32 v5, vcc, 0, v5, vcc
	v_mul_lo_u32 v10, s21, v1
	v_mul_lo_u32 v11, s20, v5
	v_mad_u64_u32 v[8:9], s[0:1], s20, v1, 0
	v_add3_u32 v9, v9, v11, v10
	v_sub_u32_e32 v10, v7, v9
	v_mov_b32_e32 v11, s21
	v_sub_co_u32_e32 v8, vcc, v6, v8
	v_subb_co_u32_e64 v10, s[0:1], v10, v11, vcc
	v_subrev_co_u32_e64 v11, s[0:1], s20, v8
	v_subbrev_co_u32_e64 v10, s[0:1], 0, v10, s[0:1]
	v_cmp_le_u32_e64 s[0:1], s21, v10
	v_cndmask_b32_e64 v12, 0, -1, s[0:1]
	v_cmp_le_u32_e64 s[0:1], s20, v11
	v_cndmask_b32_e64 v11, 0, -1, s[0:1]
	v_cmp_eq_u32_e64 s[0:1], s21, v10
	v_cndmask_b32_e64 v10, v12, v11, s[0:1]
	v_add_co_u32_e64 v11, s[0:1], 2, v1
	v_addc_co_u32_e64 v12, s[0:1], 0, v5, s[0:1]
	v_add_co_u32_e64 v13, s[0:1], 1, v1
	v_addc_co_u32_e64 v14, s[0:1], 0, v5, s[0:1]
	v_subb_co_u32_e32 v9, vcc, v7, v9, vcc
	v_cmp_ne_u32_e64 s[0:1], 0, v10
	v_cmp_le_u32_e32 vcc, s21, v9
	v_cndmask_b32_e64 v10, v14, v12, s[0:1]
	v_cndmask_b32_e64 v12, 0, -1, vcc
	v_cmp_le_u32_e32 vcc, s20, v8
	v_cndmask_b32_e64 v8, 0, -1, vcc
	v_cmp_eq_u32_e32 vcc, s21, v9
	v_cndmask_b32_e32 v8, v12, v8, vcc
	v_cmp_ne_u32_e32 vcc, 0, v8
	v_cndmask_b32_e32 v9, v5, v10, vcc
	v_cndmask_b32_e64 v5, v13, v11, s[0:1]
	v_cndmask_b32_e32 v8, v1, v5, vcc
.LBB0_4:                                ;   in Loop: Header=BB0_2 Depth=1
	s_andn2_saveexec_b64 s[0:1], s[22:23]
	s_cbranch_execz .LBB0_6
; %bb.5:                                ;   in Loop: Header=BB0_2 Depth=1
	v_cvt_f32_u32_e32 v1, s20
	s_sub_i32 s22, 0, s20
	v_rcp_iflag_f32_e32 v1, v1
	v_mul_f32_e32 v1, 0x4f7ffffe, v1
	v_cvt_u32_f32_e32 v1, v1
	v_mul_lo_u32 v5, s22, v1
	v_mul_hi_u32 v5, v1, v5
	v_add_u32_e32 v1, v1, v5
	v_mul_hi_u32 v1, v6, v1
	v_mul_lo_u32 v5, v1, s20
	v_sub_u32_e32 v5, v6, v5
	v_add_u32_e32 v8, 1, v1
	v_subrev_u32_e32 v9, s20, v5
	v_cmp_le_u32_e32 vcc, s20, v5
	v_cndmask_b32_e32 v5, v5, v9, vcc
	v_cndmask_b32_e32 v1, v1, v8, vcc
	v_add_u32_e32 v8, 1, v1
	v_cmp_le_u32_e32 vcc, s20, v5
	v_cndmask_b32_e32 v8, v1, v8, vcc
	v_mov_b32_e32 v9, v4
.LBB0_6:                                ;   in Loop: Header=BB0_2 Depth=1
	s_or_b64 exec, exec, s[0:1]
	v_mad_u64_u32 v[10:11], s[0:1], v8, s20, 0
	s_load_dwordx2 s[0:1], s[6:7], 0x0
	v_mul_lo_u32 v1, v9, s20
	v_mul_lo_u32 v5, v8, s21
	v_add3_u32 v1, v11, v5, v1
	v_sub_co_u32_e32 v5, vcc, v6, v10
	s_add_u32 s16, s16, 1
	v_subb_co_u32_e32 v1, vcc, v7, v1, vcc
	s_addc_u32 s17, s17, 0
	s_waitcnt lgkmcnt(0)
	v_mul_lo_u32 v1, s0, v1
	v_mul_lo_u32 v6, s1, v5
	v_mad_u64_u32 v[2:3], s[0:1], s0, v5, v[2:3]
	s_add_u32 s6, s6, 8
	v_add3_u32 v3, v6, v3, v1
	s_addc_u32 s7, s7, 0
	v_pk_mov_b32 v[6:7], s[10:11], s[10:11] op_sel:[0,1]
	s_add_u32 s18, s18, 8
	v_cmp_ge_u64_e32 vcc, s[16:17], v[6:7]
	s_addc_u32 s19, s19, 0
	s_cbranch_vccnz .LBB0_9
; %bb.7:                                ;   in Loop: Header=BB0_2 Depth=1
	v_pk_mov_b32 v[6:7], v[8:9], v[8:9] op_sel:[0,1]
	s_branch .LBB0_2
.LBB0_8:
	v_pk_mov_b32 v[8:9], v[6:7], v[6:7] op_sel:[0,1]
.LBB0_9:
	s_lshl_b64 s[0:1], s[10:11], 3
	s_add_u32 s0, s14, s0
	s_addc_u32 s1, s15, s1
	s_load_dwordx2 s[6:7], s[0:1], 0x0
	s_load_dwordx2 s[10:11], s[4:5], 0x20
	s_mov_b32 s4, 0x539782a
                                        ; implicit-def: $vgpr16
                                        ; implicit-def: $vgpr76
                                        ; implicit-def: $vgpr77
                                        ; implicit-def: $vgpr78
                                        ; implicit-def: $vgpr79
                                        ; implicit-def: $vgpr80
	s_waitcnt lgkmcnt(0)
	v_mul_lo_u32 v1, s6, v9
	v_mul_lo_u32 v4, s7, v8
	v_mad_u64_u32 v[2:3], s[0:1], s6, v8, v[2:3]
	v_add3_u32 v3, v4, v3, v1
	v_mul_hi_u32 v1, v0, s4
	v_mul_u32_u24_e32 v1, 49, v1
	v_sub_u32_e32 v74, v0, v1
	v_cmp_gt_u64_e32 vcc, s[10:11], v[8:9]
	v_cmp_le_u64_e64 s[0:1], s[10:11], v[8:9]
	v_add_u32_e32 v75, 49, v74
                                        ; implicit-def: $sgpr6
	s_and_saveexec_b64 s[4:5], s[0:1]
	s_xor_b64 s[0:1], exec, s[4:5]
; %bb.10:
	v_add_u32_e32 v16, 49, v74
	v_add_u32_e32 v76, 0x62, v74
	;; [unrolled: 1-line block ×6, first 2 shown]
	s_mov_b32 s6, 0
; %bb.11:
	s_or_saveexec_b64 s[4:5], s[0:1]
	v_mov_b32_e32 v90, s6
	v_lshlrev_b64 v[12:13], 2, v[2:3]
	v_mov_b32_e32 v87, s6
	v_mov_b32_e32 v86, s6
	;; [unrolled: 1-line block ×27, first 2 shown]
                                        ; implicit-def: $vgpr28
                                        ; implicit-def: $vgpr30
                                        ; implicit-def: $vgpr27
                                        ; implicit-def: $vgpr31
                                        ; implicit-def: $vgpr29
                                        ; implicit-def: $vgpr32
                                        ; implicit-def: $vgpr9
                                        ; implicit-def: $vgpr33
                                        ; implicit-def: $vgpr6
                                        ; implicit-def: $vgpr42
                                        ; implicit-def: $vgpr92
                                        ; implicit-def: $vgpr43
                                        ; implicit-def: $vgpr91
                                        ; implicit-def: $vgpr44
                                        ; implicit-def: $vgpr4
                                        ; implicit-def: $vgpr5
                                        ; implicit-def: $vgpr15
                                        ; implicit-def: $vgpr17
                                        ; implicit-def: $vgpr23
                                        ; implicit-def: $vgpr24
                                        ; implicit-def: $vgpr36
                                        ; implicit-def: $vgpr37
                                        ; implicit-def: $vgpr38
                                        ; implicit-def: $vgpr39
                                        ; implicit-def: $vgpr40
                                        ; implicit-def: $vgpr41
                                        ; implicit-def: $vgpr45
                                        ; implicit-def: $vgpr46
	s_xor_b64 exec, exec, s[4:5]
	s_cbranch_execz .LBB0_13
; %bb.12:
	v_mad_u64_u32 v[0:1], s[0:1], s2, v74, 0
	v_mov_b32_e32 v2, v1
	v_mad_u64_u32 v[2:3], s[0:1], s3, v74, v[2:3]
	v_mov_b32_e32 v1, v2
	v_mov_b32_e32 v2, s13
	v_add_co_u32_e64 v81, s[0:1], s12, v12
	v_addc_co_u32_e64 v82, s[0:1], v2, v13, s[0:1]
	v_lshlrev_b64 v[0:1], 2, v[0:1]
	v_add_co_u32_e64 v0, s[0:1], v81, v0
	v_add_u32_e32 v5, 0x157, v74
	v_addc_co_u32_e64 v1, s[0:1], v82, v1, s[0:1]
	v_mad_u64_u32 v[2:3], s[0:1], s2, v5, 0
	v_mov_b32_e32 v4, v3
	v_mad_u64_u32 v[4:5], s[0:1], s3, v5, v[4:5]
	v_mov_b32_e32 v3, v4
	v_lshlrev_b64 v[2:3], 2, v[2:3]
	v_add_co_u32_e64 v2, s[0:1], v81, v2
	v_add_u32_e32 v7, 0x2ae, v74
	v_addc_co_u32_e64 v3, s[0:1], v82, v3, s[0:1]
	v_mad_u64_u32 v[4:5], s[0:1], s2, v7, 0
	v_mov_b32_e32 v6, v5
	v_mad_u64_u32 v[6:7], s[0:1], s3, v7, v[6:7]
	v_mov_b32_e32 v5, v6
	;; [unrolled: 8-line block ×6, first 2 shown]
	v_lshlrev_b64 v[14:15], 2, v[14:15]
	v_add_co_u32_e64 v14, s[0:1], v81, v14
	v_addc_co_u32_e64 v15, s[0:1], v82, v15, s[0:1]
	v_mad_u64_u32 v[16:17], s[0:1], s2, v75, 0
	v_mov_b32_e32 v18, v17
	v_mad_u64_u32 v[18:19], s[0:1], s3, v75, v[18:19]
	v_mov_b32_e32 v17, v18
	v_lshlrev_b64 v[16:17], 2, v[16:17]
	v_add_co_u32_e64 v16, s[0:1], v81, v16
	v_add_u32_e32 v21, 0x188, v74
	v_addc_co_u32_e64 v17, s[0:1], v82, v17, s[0:1]
	v_mad_u64_u32 v[18:19], s[0:1], s2, v21, 0
	v_mov_b32_e32 v20, v19
	v_mad_u64_u32 v[20:21], s[0:1], s3, v21, v[20:21]
	v_mov_b32_e32 v19, v20
	v_lshlrev_b64 v[18:19], 2, v[18:19]
	v_add_co_u32_e64 v18, s[0:1], v81, v18
	v_add_u32_e32 v23, 0x2df, v74
	;; [unrolled: 8-line block ×39, first 2 shown]
	v_addc_co_u32_e64 v115, s[0:1], v82, v85, s[0:1]
	v_mad_u64_u32 v[84:85], s[0:1], s2, v83, 0
	v_mov_b32_e32 v86, v85
	v_mad_u64_u32 v[86:87], s[0:1], s3, v83, v[86:87]
	v_mov_b32_e32 v85, v86
	v_lshlrev_b64 v[84:85], 2, v[84:85]
	v_add_co_u32_e64 v116, s[0:1], v81, v84
	v_addc_co_u32_e64 v117, s[0:1], v82, v85, s[0:1]
	global_load_dword v87, v[0:1], off
	global_load_dword v90, v[2:3], off
	;; [unrolled: 1-line block ×15, first 2 shown]
                                        ; kill: killed $vgpr16 killed $vgpr17
                                        ; kill: killed $vgpr24 killed $vgpr25
                                        ; kill: killed $vgpr0 killed $vgpr1
                                        ; kill: killed $vgpr18 killed $vgpr19
                                        ; kill: killed $vgpr8 killed $vgpr9
                                        ; kill: killed $vgpr26 killed $vgpr27
                                        ; kill: killed $vgpr2 killed $vgpr3
                                        ; kill: killed $vgpr30 killed $vgpr31
                                        ; kill: killed $vgpr20 killed $vgpr21
                                        ; kill: killed $vgpr10 killed $vgpr11
                                        ; kill: killed $vgpr4 killed $vgpr5
                                        ; kill: killed $vgpr34 killed $vgpr35
                                        ; kill: killed $vgpr22 killed $vgpr23
                                        ; kill: killed $vgpr6 killed $vgpr7
                                        ; kill: killed $vgpr14 killed $vgpr15
	s_nop 0
	global_load_dword v34, v[28:29], off
	global_load_dword v35, v[32:33], off
	;; [unrolled: 1-line block ×15, first 2 shown]
                                        ; kill: killed $vgpr44 killed $vgpr45
                                        ; kill: killed $vgpr36 killed $vgpr37
                                        ; kill: killed $vgpr52 killed $vgpr53
                                        ; kill: killed $vgpr46 killed $vgpr47
                                        ; kill: killed $vgpr54 killed $vgpr55
                                        ; kill: killed $vgpr56 killed $vgpr57
                                        ; kill: killed $vgpr48 killed $vgpr49
                                        ; kill: killed $vgpr60 killed $vgpr61
                                        ; kill: killed $vgpr50 killed $vgpr51
                                        ; kill: killed $vgpr62 killed $vgpr63
                                        ; kill: killed $vgpr38 killed $vgpr39
                                        ; kill: killed $vgpr28 killed $vgpr29
                                        ; kill: killed $vgpr40 killed $vgpr41
                                        ; kill: killed $vgpr42 killed $vgpr43
                                        ; kill: killed $vgpr32 killed $vgpr33
	global_load_dword v19, v[58:59], off
	global_load_dword v24, v[64:65], off
	;; [unrolled: 1-line block ×12, first 2 shown]
	v_add_u32_e32 v7, 0x930, v74
	v_mad_u64_u32 v[4:5], s[0:1], s2, v7, 0
	v_mov_b32_e32 v10, v5
	s_waitcnt vmcnt(36)
	v_lshrrev_b32_e32 v44, 16, v118
	s_waitcnt vmcnt(29)
	v_lshrrev_b32_e32 v43, 16, v120
	;; [unrolled: 2-line block ×4, first 2 shown]
	s_waitcnt vmcnt(12)
	v_mad_u64_u32 v[14:15], s[0:1], s3, v7, v[10:11]
	v_mov_b32_e32 v5, v14
	v_lshlrev_b64 v[4:5], 2, v[4:5]
	v_add_co_u32_e64 v4, s[0:1], v81, v4
	v_addc_co_u32_e64 v5, s[0:1], v82, v5, s[0:1]
	v_add_u32_e32 v15, 0x651, v74
	global_load_dword v28, v[4:5], off
	global_load_dword v29, v[66:67], off
	;; [unrolled: 1-line block ×6, first 2 shown]
	v_mad_u64_u32 v[4:5], s[0:1], s2, v15, 0
	v_mov_b32_e32 v16, v5
	v_mad_u64_u32 v[16:17], s[0:1], s3, v15, v[16:17]
	v_mov_b32_e32 v5, v16
	v_lshlrev_b64 v[4:5], 2, v[4:5]
	v_add_co_u32_e64 v4, s[0:1], v81, v4
	v_addc_co_u32_e64 v5, s[0:1], v82, v5, s[0:1]
	global_load_dword v18, v[4:5], off
	s_mov_b32 s0, 0x5040100
	s_mov_b32 s1, 0x7060302
	s_waitcnt vmcnt(15)
	v_lshrrev_b32_e32 v32, 16, v23
	s_waitcnt vmcnt(14)
	v_lshrrev_b32_e32 v31, 16, v36
	v_perm_b32 v23, v23, v24, s0
	s_waitcnt vmcnt(7)
	v_lshrrev_b32_e32 v30, 16, v38
	v_perm_b32 v4, v38, v37, s0
	v_perm_b32 v38, v122, v121, s0
	;; [unrolled: 1-line block ×6, first 2 shown]
	v_mov_b32_e32 v16, v75
	s_waitcnt vmcnt(6)
	v_perm_b32 v5, v28, v37, s1
	s_waitcnt vmcnt(5)
	v_perm_b32 v24, v29, v24, s1
	v_perm_b32 v37, v9, v123, s1
	s_waitcnt vmcnt(1)
	v_perm_b32 v15, v36, v39, s0
	v_perm_b32 v17, v27, v39, s1
	;; [unrolled: 1-line block ×4, first 2 shown]
.LBB0_13:
	s_or_b64 exec, exec, s[4:5]
	s_mov_b32 s16, 0x7060302
	s_mov_b32 s17, 0x5040100
	v_add_f16_e32 v58, v9, v22
	v_sub_f16_e32 v59, v22, v9
	v_add_f16_sdwa v60, v33, v25 dst_sel:DWORD dst_unused:UNUSED_PAD src0_sel:DWORD src1_sel:WORD_1
	v_sub_f16_sdwa v61, v25, v33 dst_sel:DWORD dst_unused:UNUSED_PAD src0_sel:WORD_1 src1_sel:DWORD
	v_add_f16_e32 v70, v28, v1
	v_sub_f16_e32 v33, v1, v28
	v_perm_b32 v9, v90, v93, s16
	v_perm_b32 v28, v94, v93, s17
	v_add_f16_e32 v47, v91, v90
	v_add_f16_sdwa v49, v44, v94 dst_sel:DWORD dst_unused:UNUSED_PAD src0_sel:DWORD src1_sel:WORD_1
	v_add_f16_e32 v62, v29, v11
	v_sub_f16_e32 v63, v11, v29
	v_add_f16_e32 v66, v27, v10
	v_sub_f16_e32 v67, v10, v27
	v_pk_add_f16 v27, v46, v9
	v_pk_add_f16 v29, v28, v45 neg_lo:[0,1] neg_hi:[0,1]
	v_pk_add_f16 v28, v45, v28
	v_sub_f16_sdwa v44, v94, v44 dst_sel:DWORD dst_unused:UNUSED_PAD src0_sel:WORD_1 src1_sel:DWORD
	v_add_f16_sdwa v68, v31, v14 dst_sel:DWORD dst_unused:UNUSED_PAD src0_sel:DWORD src1_sel:WORD_1
	v_sub_f16_sdwa v69, v14, v31 dst_sel:DWORD dst_unused:UNUSED_PAD src0_sel:WORD_1 src1_sel:DWORD
	v_add_f16_sdwa v71, v30, v2 dst_sel:DWORD dst_unused:UNUSED_PAD src0_sel:DWORD src1_sel:WORD_1
	v_sub_f16_sdwa v72, v2, v30 dst_sel:DWORD dst_unused:UNUSED_PAD src0_sel:WORD_1 src1_sel:DWORD
	v_pk_add_f16 v9, v9, v46 neg_lo:[0,1] neg_hi:[0,1]
	v_add_f16_sdwa v30, v47, v28 dst_sel:DWORD dst_unused:UNUSED_PAD src0_sel:DWORD src1_sel:WORD_1
	v_add_f16_sdwa v31, v27, v49 dst_sel:DWORD dst_unused:UNUSED_PAD src0_sel:WORD_1 src1_sel:DWORD
	v_alignbit_b32 v45, v47, v28, 16
	v_sub_f16_e32 v48, v90, v91
	v_add_f16_sdwa v52, v43, v88 dst_sel:DWORD dst_unused:UNUSED_PAD src0_sel:DWORD src1_sel:WORD_1
	v_sub_f16_sdwa v53, v88, v43 dst_sel:DWORD dst_unused:UNUSED_PAD src0_sel:WORD_1 src1_sel:DWORD
	v_add_f16_sdwa v56, v42, v35 dst_sel:DWORD dst_unused:UNUSED_PAD src0_sel:DWORD src1_sel:WORD_1
	v_sub_f16_sdwa v57, v35, v42 dst_sel:DWORD dst_unused:UNUSED_PAD src0_sel:WORD_1 src1_sel:DWORD
	;; [unrolled: 2-line block ×3, first 2 shown]
	v_sub_f16_sdwa v32, v49, v27 dst_sel:DWORD dst_unused:UNUSED_PAD src0_sel:DWORD src1_sel:WORD_1
	v_sub_f16_e32 v42, v47, v28
	v_sub_f16_sdwa v43, v27, v27 dst_sel:DWORD dst_unused:UNUSED_PAD src0_sel:WORD_1 src1_sel:DWORD
	v_pk_add_f16 v45, v28, v45 neg_lo:[0,1] neg_hi:[0,1]
	v_sub_f16_e32 v46, v27, v49
	v_add_f16_sdwa v47, v29, v29 dst_sel:DWORD dst_unused:UNUSED_PAD src0_sel:WORD_1 src1_sel:DWORD
	v_add_f16_e32 v49, v44, v9
	v_pack_b32_f16 v82, v44, v9
	v_add_f16_e32 v28, v30, v28
	v_add_f16_e32 v27, v31, v27
	s_mov_b32 s15, 0x39e02b26
	v_sub_f16_sdwa v73, v29, v29 dst_sel:DWORD dst_unused:UNUSED_PAD src0_sel:DWORD src1_sel:WORD_1
	v_sub_f16_e32 v81, v48, v29
	v_pk_add_f16 v82, v9, v82 neg_lo:[0,1] neg_hi:[0,1]
	v_sub_f16_sdwa v29, v29, v48 dst_sel:DWORD dst_unused:UNUSED_PAD src0_sel:WORD_1 src1_sel:DWORD
	v_sub_f16_sdwa v44, v44, v9 dst_sel:DWORD dst_unused:UNUSED_PAD src0_sel:DWORD src1_sel:WORD_1
	v_add_f16_e32 v30, v48, v47
	v_add_f16_sdwa v31, v9, v49 dst_sel:DWORD dst_unused:UNUSED_PAD src0_sel:WORD_1 src1_sel:DWORD
	v_add_f16_e32 v47, v28, v87
	v_add_f16_sdwa v9, v27, v87 dst_sel:DWORD dst_unused:UNUSED_PAD src0_sel:DWORD src1_sel:WORD_1
	v_mul_f16_e32 v48, 0xba52, v42
	v_pk_mul_f16 v87, v45, s15
	s_mov_b32 s14, 0x3574b846
	s_movk_i32 s7, 0x3a52
	v_mul_f16_e32 v49, 0x3a52, v43
	v_mul_f16_e32 v46, 0x2b26, v46
	v_pk_mul_f16 v91, v82, s14
	v_mul_f16_e32 v44, 0x3b00, v44
	s_mov_b32 s10, 0xbcab
	s_movk_i32 s4, 0x39e0
	v_alignbit_b32 v48, v48, v87, 16
	s_mov_b32 s5, 0xb9e0
	v_add_f16_e32 v50, v92, v86
	v_sub_f16_e32 v51, v86, v92
	s_movk_i32 s0, 0x370e
	v_mul_f16_e32 v90, 0x370e, v31
	v_mul_f16_e32 v73, 0xb846, v73
	s_movk_i32 s1, 0x3b00
	v_mul_f16_e32 v92, 0x3b00, v29
	v_fma_f16 v28, v28, s10, v47
	v_fma_f16 v42, v42, s7, v87
	;; [unrolled: 1-line block ×3, first 2 shown]
	v_fma_f16 v46, v32, s4, -v46
	v_pk_fma_f16 v45, v45, s15, v48 neg_lo:[1,0,0] neg_hi:[1,0,0]
	v_fma_f16 v32, v32, s5, -v49
	s_movk_i32 s11, 0x3574
	v_add_f16_sdwa v49, v91, v91 dst_sel:DWORD dst_unused:UNUSED_PAD src0_sel:WORD_1 src1_sel:DWORD
	s_mov_b32 s6, 0xb574
	v_pk_fma_f16 v44, v82, s14, v44 op_sel_hi:[1,1,0] neg_lo:[1,0,0] neg_hi:[1,0,1]
	v_fma_f16 v27, v27, s10, v9
	v_fma_f16 v48, v81, s11, v73
	v_fma_f16 v29, v29, s1, -v73
	v_fma_f16 v73, v81, s6, -v92
	v_add_f16_e32 v42, v42, v28
	v_pk_add_f16 v45, v45, v28 op_sel_hi:[1,0]
	v_fma_f16 v49, v31, s0, v49
	v_pk_add_f16 v31, v44, v90 op_sel_hi:[1,0]
	v_add_f16_e32 v43, v43, v27
	v_add_f16_e32 v46, v46, v27
	v_add_f16_e32 v27, v32, v27
	v_fma_f16 v48, v30, s0, v48
	v_fma_f16 v29, v30, s0, v29
	;; [unrolled: 1-line block ×3, first 2 shown]
	v_add_f16_e32 v81, v42, v49
	v_pk_add_f16 v82, v45, v31
	v_pk_add_f16 v45, v45, v31 neg_lo:[0,1] neg_hi:[0,1]
	s_mov_b32 s18, 0xffff
	v_add_f16_e32 v54, v6, v34
	v_sub_f16_e32 v55, v34, v6
	v_mad_u32_u24 v6, v74, 14, 0
	v_sub_f16_e32 v28, v43, v48
	v_sub_f16_e32 v30, v27, v73
	v_add_f16_e32 v31, v29, v46
	v_sub_f16_e32 v32, v46, v29
	v_add_f16_e32 v87, v73, v27
	;; [unrolled: 2-line block ×3, first 2 shown]
	v_bfi_b32 v44, s18, v82, v45
	v_alignbit_b32 v43, v45, v82, 16
	v_pack_b32_f16 v42, v47, v81
	ds_write_b96 v6, v[42:44]
	ds_write_b16 v6, v29 offset:12
	v_perm_b32 v44, v88, v89, s17
	v_perm_b32 v42, v86, v89, s16
	v_pk_add_f16 v45, v44, v40 neg_lo:[0,1] neg_hi:[0,1]
	v_pk_add_f16 v40, v40, v44
	v_pk_add_f16 v43, v41, v42
	v_pk_add_f16 v41, v42, v41 neg_lo:[0,1] neg_hi:[0,1]
	v_alignbit_b32 v49, v50, v40, 16
	v_add_f16_sdwa v42, v50, v40 dst_sel:DWORD dst_unused:UNUSED_PAD src0_sel:DWORD src1_sel:WORD_1
	v_add_f16_sdwa v44, v43, v52 dst_sel:DWORD dst_unused:UNUSED_PAD src0_sel:WORD_1 src1_sel:DWORD
	v_sub_f16_sdwa v46, v52, v43 dst_sel:DWORD dst_unused:UNUSED_PAD src0_sel:DWORD src1_sel:WORD_1
	v_sub_f16_e32 v47, v50, v40
	v_pk_add_f16 v49, v40, v49 neg_lo:[0,1] neg_hi:[0,1]
	v_sub_f16_e32 v50, v43, v52
	v_add_f16_sdwa v52, v45, v45 dst_sel:DWORD dst_unused:UNUSED_PAD src0_sel:WORD_1 src1_sel:DWORD
	v_add_f16_e32 v73, v53, v41
	v_pack_b32_f16 v86, v53, v41
	v_sub_f16_sdwa v48, v43, v43 dst_sel:DWORD dst_unused:UNUSED_PAD src0_sel:WORD_1 src1_sel:DWORD
	v_sub_f16_sdwa v81, v45, v45 dst_sel:DWORD dst_unused:UNUSED_PAD src0_sel:DWORD src1_sel:WORD_1
	v_sub_f16_e32 v82, v51, v45
	v_pk_add_f16 v86, v41, v86 neg_lo:[0,1] neg_hi:[0,1]
	v_sub_f16_sdwa v45, v45, v51 dst_sel:DWORD dst_unused:UNUSED_PAD src0_sel:WORD_1 src1_sel:DWORD
	v_sub_f16_sdwa v53, v53, v41 dst_sel:DWORD dst_unused:UNUSED_PAD src0_sel:DWORD src1_sel:WORD_1
	v_add_f16_e32 v40, v42, v40
	v_add_f16_e32 v42, v44, v43
	;; [unrolled: 1-line block ×3, first 2 shown]
	v_add_f16_sdwa v41, v41, v73 dst_sel:DWORD dst_unused:UNUSED_PAD src0_sel:WORD_1 src1_sel:DWORD
	v_mul_f16_e32 v51, 0xba52, v47
	v_pk_mul_f16 v73, v49, s15
	v_add_f16_e32 v44, v40, v84
	v_mul_f16_e32 v52, 0x3a52, v48
	v_mul_f16_e32 v50, 0x2b26, v50
	v_pk_mul_f16 v89, v86, s14
	v_mul_f16_e32 v53, 0x3b00, v53
	v_alignbit_b32 v51, v51, v73, 16
	v_add_f16_sdwa v88, v42, v84 dst_sel:DWORD dst_unused:UNUSED_PAD src0_sel:DWORD src1_sel:WORD_1
	v_mul_f16_e32 v84, 0x370e, v41
	v_mul_f16_e32 v81, 0xb846, v81
	;; [unrolled: 1-line block ×3, first 2 shown]
	v_fma_f16 v40, v40, s10, v44
	v_fma_f16 v47, v47, s7, v73
	;; [unrolled: 1-line block ×3, first 2 shown]
	v_fma_f16 v50, v46, s4, -v50
	v_pk_fma_f16 v49, v49, s15, v51 neg_lo:[1,0,0] neg_hi:[1,0,0]
	v_fma_f16 v46, v46, s5, -v52
	v_add_f16_sdwa v52, v89, v89 dst_sel:DWORD dst_unused:UNUSED_PAD src0_sel:WORD_1 src1_sel:DWORD
	v_pk_fma_f16 v53, v86, s14, v53 op_sel_hi:[1,1,0] neg_lo:[1,0,0] neg_hi:[1,0,1]
	v_fma_f16 v42, v42, s10, v88
	v_fma_f16 v51, v82, s11, v81
	v_fma_f16 v45, v45, s1, -v81
	v_fma_f16 v73, v82, s6, -v90
	v_add_f16_e32 v47, v47, v40
	v_pk_add_f16 v40, v49, v40 op_sel_hi:[1,0]
	v_fma_f16 v41, v41, s0, v52
	v_pk_add_f16 v49, v53, v84 op_sel_hi:[1,0]
	v_add_f16_e32 v48, v48, v42
	v_add_f16_e32 v50, v50, v42
	v_add_f16_e32 v42, v46, v42
	v_fma_f16 v46, v43, s0, v51
	v_fma_f16 v45, v43, s0, v45
	;; [unrolled: 1-line block ×3, first 2 shown]
	v_add_f16_e32 v51, v47, v41
	v_pk_add_f16 v52, v40, v49
	v_pk_add_f16 v40, v40, v49 neg_lo:[0,1] neg_hi:[0,1]
	v_mad_i32_i24 v29, v16, 14, 0
	v_sub_f16_e32 v90, v42, v43
	v_add_f16_e32 v95, v43, v42
	v_sub_f16_e32 v43, v47, v41
	v_bfi_b32 v42, s18, v52, v40
	v_alignbit_b32 v41, v40, v52, 16
	v_pack_b32_f16 v40, v44, v51
	v_perm_b32 v35, v35, v85, s17
	ds_write_b96 v29, v[40:42]
	ds_write_b16 v29, v43 offset:12
	v_perm_b32 v34, v34, v85, s16
	v_pk_add_f16 v41, v35, v38 neg_lo:[0,1] neg_hi:[0,1]
	v_pk_add_f16 v35, v38, v35
	v_add_f16_e32 v93, v45, v50
	v_sub_f16_e32 v94, v50, v45
	v_pk_add_f16 v40, v39, v34
	v_pk_add_f16 v34, v34, v39 neg_lo:[0,1] neg_hi:[0,1]
	v_alignbit_b32 v45, v54, v35, 16
	v_add_f16_sdwa v38, v54, v35 dst_sel:DWORD dst_unused:UNUSED_PAD src0_sel:DWORD src1_sel:WORD_1
	v_add_f16_sdwa v39, v40, v56 dst_sel:DWORD dst_unused:UNUSED_PAD src0_sel:WORD_1 src1_sel:DWORD
	v_sub_f16_e32 v43, v54, v35
	v_pk_add_f16 v45, v35, v45 neg_lo:[0,1] neg_hi:[0,1]
	v_pack_b32_f16 v51, v57, v34
	v_sub_f16_e32 v89, v48, v46
	v_add_f16_e32 v91, v46, v48
	v_sub_f16_sdwa v42, v56, v40 dst_sel:DWORD dst_unused:UNUSED_PAD src0_sel:DWORD src1_sel:WORD_1
	v_sub_f16_sdwa v44, v40, v40 dst_sel:DWORD dst_unused:UNUSED_PAD src0_sel:WORD_1 src1_sel:DWORD
	v_sub_f16_e32 v46, v40, v56
	v_add_f16_sdwa v47, v41, v41 dst_sel:DWORD dst_unused:UNUSED_PAD src0_sel:WORD_1 src1_sel:DWORD
	v_add_f16_e32 v48, v57, v34
	v_sub_f16_sdwa v49, v41, v41 dst_sel:DWORD dst_unused:UNUSED_PAD src0_sel:DWORD src1_sel:WORD_1
	v_sub_f16_e32 v50, v55, v41
	v_pk_add_f16 v51, v34, v51 neg_lo:[0,1] neg_hi:[0,1]
	v_sub_f16_sdwa v41, v41, v55 dst_sel:DWORD dst_unused:UNUSED_PAD src0_sel:WORD_1 src1_sel:DWORD
	v_sub_f16_sdwa v52, v57, v34 dst_sel:DWORD dst_unused:UNUSED_PAD src0_sel:DWORD src1_sel:WORD_1
	v_add_f16_e32 v35, v38, v35
	v_add_f16_e32 v38, v39, v40
	v_mul_f16_e32 v40, 0xba52, v43
	v_pk_mul_f16 v53, v45, s15
	v_add_f16_e32 v39, v55, v47
	v_add_f16_sdwa v34, v34, v48 dst_sel:DWORD dst_unused:UNUSED_PAD src0_sel:WORD_1 src1_sel:DWORD
	v_add_f16_e32 v47, v35, v83
	v_add_f16_sdwa v96, v38, v83 dst_sel:DWORD dst_unused:UNUSED_PAD src0_sel:DWORD src1_sel:WORD_1
	v_mul_f16_e32 v48, 0x3a52, v44
	v_mul_f16_e32 v46, 0x2b26, v46
	;; [unrolled: 1-line block ×3, first 2 shown]
	v_pk_mul_f16 v55, v51, s14
	v_mul_f16_e32 v56, 0x3b00, v41
	v_mul_f16_e32 v52, 0x3b00, v52
	v_alignbit_b32 v40, v40, v53, 16
	v_mul_f16_e32 v54, 0x370e, v34
	v_fma_f16 v35, v35, s10, v47
	v_fma_f16 v38, v38, s10, v96
	;; [unrolled: 1-line block ×4, first 2 shown]
	v_fma_f16 v46, v42, s4, -v46
	v_pk_fma_f16 v40, v45, s15, v40 neg_lo:[1,0,0] neg_hi:[1,0,0]
	v_fma_f16 v42, v42, s5, -v48
	v_fma_f16 v45, v50, s11, v49
	v_add_f16_sdwa v48, v55, v55 dst_sel:DWORD dst_unused:UNUSED_PAD src0_sel:WORD_1 src1_sel:DWORD
	v_fma_f16 v41, v41, s1, -v49
	v_fma_f16 v49, v50, s6, -v56
	v_pk_fma_f16 v50, v51, s14, v52 op_sel_hi:[1,1,0] neg_lo:[1,0,0] neg_hi:[1,0,1]
	v_add_f16_e32 v43, v43, v35
	v_add_f16_e32 v44, v44, v38
	;; [unrolled: 1-line block ×3, first 2 shown]
	v_pk_add_f16 v35, v40, v35 op_sel_hi:[1,0]
	v_add_f16_e32 v38, v42, v38
	v_fma_f16 v34, v34, s0, v48
	v_pk_add_f16 v42, v50, v54 op_sel_hi:[1,0]
	v_fma_f16 v40, v39, s0, v45
	v_fma_f16 v41, v39, s0, v41
	;; [unrolled: 1-line block ×3, first 2 shown]
	v_add_f16_e32 v45, v43, v34
	v_pk_add_f16 v48, v35, v42
	v_pk_add_f16 v35, v35, v42 neg_lo:[0,1] neg_hi:[0,1]
	v_mad_i32_i24 v92, v76, 14, 0
	v_sub_f16_e32 v97, v44, v40
	v_sub_f16_e32 v98, v38, v39
	v_add_f16_e32 v101, v39, v38
	v_sub_f16_e32 v34, v43, v34
	v_add_f16_e32 v102, v40, v44
	v_bfi_b32 v40, s18, v48, v35
	v_alignbit_b32 v39, v35, v48, 16
	v_pack_b32_f16 v38, v47, v45
	v_perm_b32 v22, v22, v26, s16
	v_perm_b32 v25, v25, v26, s17
	ds_write_b96 v92, v[38:40]
	ds_write_b16 v92, v34 offset:12
	v_pk_add_f16 v34, v37, v22
	v_pk_add_f16 v26, v25, v36 neg_lo:[0,1] neg_hi:[0,1]
	v_pk_add_f16 v25, v36, v25
	v_pk_add_f16 v22, v22, v37 neg_lo:[0,1] neg_hi:[0,1]
	v_add_f16_sdwa v35, v58, v25 dst_sel:DWORD dst_unused:UNUSED_PAD src0_sel:DWORD src1_sel:WORD_1
	v_add_f16_sdwa v36, v34, v60 dst_sel:DWORD dst_unused:UNUSED_PAD src0_sel:WORD_1 src1_sel:DWORD
	v_alignbit_b32 v40, v58, v25, 16
	v_add_f16_e32 v99, v41, v46
	v_sub_f16_e32 v100, v46, v41
	v_sub_f16_sdwa v37, v60, v34 dst_sel:DWORD dst_unused:UNUSED_PAD src0_sel:DWORD src1_sel:WORD_1
	v_sub_f16_e32 v38, v58, v25
	v_sub_f16_sdwa v39, v34, v34 dst_sel:DWORD dst_unused:UNUSED_PAD src0_sel:WORD_1 src1_sel:DWORD
	v_pk_add_f16 v40, v25, v40 neg_lo:[0,1] neg_hi:[0,1]
	v_sub_f16_e32 v41, v34, v60
	v_add_f16_sdwa v42, v26, v26 dst_sel:DWORD dst_unused:UNUSED_PAD src0_sel:WORD_1 src1_sel:DWORD
	v_add_f16_e32 v43, v61, v22
	v_pack_b32_f16 v46, v61, v22
	v_add_f16_e32 v25, v35, v25
	v_add_f16_e32 v34, v36, v34
	v_sub_f16_sdwa v44, v26, v26 dst_sel:DWORD dst_unused:UNUSED_PAD src0_sel:DWORD src1_sel:WORD_1
	v_pk_add_f16 v46, v22, v46 neg_lo:[0,1] neg_hi:[0,1]
	v_sub_f16_sdwa v47, v61, v22 dst_sel:DWORD dst_unused:UNUSED_PAD src0_sel:DWORD src1_sel:WORD_1
	v_add_f16_e32 v35, v59, v42
	v_add_f16_sdwa v22, v22, v43 dst_sel:DWORD dst_unused:UNUSED_PAD src0_sel:WORD_1 src1_sel:DWORD
	v_add_f16_e32 v42, v25, v21
	v_add_f16_sdwa v104, v34, v21 dst_sel:DWORD dst_unused:UNUSED_PAD src0_sel:DWORD src1_sel:WORD_1
	v_mul_f16_e32 v21, 0xba52, v38
	v_pk_mul_f16 v43, v40, s15
	v_sub_f16_e32 v45, v59, v26
	v_sub_f16_sdwa v26, v26, v59 dst_sel:DWORD dst_unused:UNUSED_PAD src0_sel:WORD_1 src1_sel:DWORD
	v_mul_f16_e32 v36, 0x3a52, v39
	v_mul_f16_e32 v41, 0x2b26, v41
	;; [unrolled: 1-line block ×3, first 2 shown]
	v_pk_mul_f16 v49, v46, s14
	v_mul_f16_e32 v47, 0x3b00, v47
	v_alignbit_b32 v21, v21, v43, 16
	v_mul_f16_e32 v48, 0x370e, v22
	v_mul_f16_e32 v50, 0x3b00, v26
	v_fma_f16 v25, v25, s10, v42
	v_fma_f16 v34, v34, s10, v104
	;; [unrolled: 1-line block ×4, first 2 shown]
	v_fma_f16 v41, v37, s4, -v41
	v_pk_fma_f16 v21, v40, s15, v21 neg_lo:[1,0,0] neg_hi:[1,0,0]
	v_fma_f16 v36, v37, s5, -v36
	v_fma_f16 v37, v45, s11, v44
	v_add_f16_sdwa v40, v49, v49 dst_sel:DWORD dst_unused:UNUSED_PAD src0_sel:WORD_1 src1_sel:DWORD
	v_fma_f16 v26, v26, s1, -v44
	v_pk_fma_f16 v44, v46, s14, v47 op_sel_hi:[1,1,0] neg_lo:[1,0,0] neg_hi:[1,0,1]
	v_fma_f16 v43, v45, s6, -v50
	v_add_f16_e32 v38, v38, v25
	v_pk_add_f16 v21, v21, v25 op_sel_hi:[1,0]
	v_add_f16_e32 v25, v36, v34
	v_fma_f16 v22, v22, s0, v40
	v_pk_add_f16 v36, v44, v48 op_sel_hi:[1,0]
	v_add_f16_e32 v39, v39, v34
	v_add_f16_e32 v41, v41, v34
	v_fma_f16 v34, v35, s0, v37
	v_fma_f16 v26, v35, s0, v26
	;; [unrolled: 1-line block ×3, first 2 shown]
	v_add_f16_e32 v37, v38, v22
	v_pk_add_f16 v40, v21, v36
	v_pk_add_f16 v21, v21, v36 neg_lo:[0,1] neg_hi:[0,1]
	v_perm_b32 v19, v19, v20, s17
	v_mad_i32_i24 v103, v77, 14, 0
	v_sub_f16_e32 v105, v39, v34
	v_sub_f16_e32 v106, v25, v35
	v_add_f16_e32 v109, v35, v25
	v_add_f16_e32 v110, v34, v39
	v_bfi_b32 v36, s18, v40, v21
	v_alignbit_b32 v35, v21, v40, 16
	v_pack_b32_f16 v34, v42, v37
	v_perm_b32 v11, v11, v20, s16
	v_pk_add_f16 v20, v19, v23 neg_lo:[0,1] neg_hi:[0,1]
	v_pk_add_f16 v19, v23, v19
	v_sub_f16_e32 v22, v38, v22
	ds_write_b96 v103, v[34:36]
	ds_write_b16 v103, v22 offset:12
	v_pk_add_f16 v21, v24, v11
	v_pk_add_f16 v11, v11, v24 neg_lo:[0,1] neg_hi:[0,1]
	v_alignbit_b32 v34, v62, v19, 16
	v_add_f16_sdwa v22, v62, v19 dst_sel:DWORD dst_unused:UNUSED_PAD src0_sel:DWORD src1_sel:WORD_1
	v_sub_f16_e32 v25, v62, v19
	v_pk_add_f16 v34, v19, v34 neg_lo:[0,1] neg_hi:[0,1]
	v_add_f16_sdwa v36, v20, v20 dst_sel:DWORD dst_unused:UNUSED_PAD src0_sel:WORD_1 src1_sel:DWORD
	v_pack_b32_f16 v40, v65, v11
	v_add_f16_e32 v107, v26, v41
	v_sub_f16_e32 v108, v41, v26
	v_add_f16_sdwa v23, v21, v64 dst_sel:DWORD dst_unused:UNUSED_PAD src0_sel:WORD_1 src1_sel:DWORD
	v_sub_f16_sdwa v26, v21, v21 dst_sel:DWORD dst_unused:UNUSED_PAD src0_sel:WORD_1 src1_sel:DWORD
	v_sub_f16_e32 v35, v21, v64
	v_add_f16_e32 v37, v65, v11
	v_sub_f16_sdwa v38, v20, v20 dst_sel:DWORD dst_unused:UNUSED_PAD src0_sel:DWORD src1_sel:WORD_1
	v_sub_f16_e32 v39, v63, v20
	v_pk_add_f16 v40, v11, v40 neg_lo:[0,1] neg_hi:[0,1]
	v_sub_f16_sdwa v20, v20, v63 dst_sel:DWORD dst_unused:UNUSED_PAD src0_sel:WORD_1 src1_sel:DWORD
	v_sub_f16_sdwa v41, v65, v11 dst_sel:DWORD dst_unused:UNUSED_PAD src0_sel:DWORD src1_sel:WORD_1
	v_add_f16_e32 v19, v22, v19
	v_add_f16_e32 v22, v63, v36
	v_mul_f16_e32 v36, 0xba52, v25
	v_pk_mul_f16 v42, v34, s15
	v_sub_f16_sdwa v24, v64, v21 dst_sel:DWORD dst_unused:UNUSED_PAD src0_sel:DWORD src1_sel:WORD_1
	v_add_f16_e32 v21, v23, v21
	v_add_f16_sdwa v11, v11, v37 dst_sel:DWORD dst_unused:UNUSED_PAD src0_sel:WORD_1 src1_sel:DWORD
	v_add_f16_e32 v23, v19, v8
	v_mul_f16_e32 v37, 0x3a52, v26
	v_mul_f16_e32 v35, 0x2b26, v35
	;; [unrolled: 1-line block ×3, first 2 shown]
	v_pk_mul_f16 v44, v40, s14
	v_mul_f16_e32 v45, 0x3b00, v20
	v_mul_f16_e32 v41, 0x3b00, v41
	v_alignbit_b32 v36, v36, v42, 16
	v_add_f16_sdwa v8, v21, v8 dst_sel:DWORD dst_unused:UNUSED_PAD src0_sel:DWORD src1_sel:WORD_1
	v_mul_f16_e32 v43, 0x370e, v11
	v_fma_f16 v19, v19, s10, v23
	v_fma_f16 v25, v25, s7, v42
	;; [unrolled: 1-line block ×3, first 2 shown]
	v_fma_f16 v35, v24, s4, -v35
	v_pk_fma_f16 v34, v34, s15, v36 neg_lo:[1,0,0] neg_hi:[1,0,0]
	v_fma_f16 v24, v24, s5, -v37
	v_fma_f16 v36, v39, s11, v38
	v_add_f16_sdwa v37, v44, v44 dst_sel:DWORD dst_unused:UNUSED_PAD src0_sel:WORD_1 src1_sel:DWORD
	v_fma_f16 v20, v20, s1, -v38
	v_fma_f16 v38, v39, s6, -v45
	v_pk_fma_f16 v39, v40, s14, v41 op_sel_hi:[1,1,0] neg_lo:[1,0,0] neg_hi:[1,0,1]
	v_fma_f16 v21, v21, s10, v8
	v_add_f16_e32 v25, v25, v19
	v_pk_add_f16 v19, v34, v19 op_sel_hi:[1,0]
	v_fma_f16 v11, v11, s0, v37
	v_pk_add_f16 v34, v39, v43 op_sel_hi:[1,0]
	s_waitcnt vmcnt(0)
	v_perm_b32 v14, v14, v18, s17
	v_add_f16_e32 v26, v26, v21
	v_add_f16_e32 v35, v35, v21
	;; [unrolled: 1-line block ×3, first 2 shown]
	v_fma_f16 v24, v22, s0, v36
	v_fma_f16 v20, v22, s0, v20
	;; [unrolled: 1-line block ×3, first 2 shown]
	v_add_f16_e32 v36, v25, v11
	v_pk_add_f16 v37, v19, v34
	v_pk_add_f16 v19, v19, v34 neg_lo:[0,1] neg_hi:[0,1]
	v_perm_b32 v10, v10, v18, s16
	v_pk_add_f16 v18, v14, v15 neg_lo:[0,1] neg_hi:[0,1]
	v_pk_add_f16 v14, v15, v14
	v_mad_i32_i24 v111, v78, 14, 0
	v_sub_f16_e32 v113, v21, v22
	v_add_f16_e32 v114, v20, v35
	v_sub_f16_e32 v115, v35, v20
	v_add_f16_e32 v116, v22, v21
	v_bfi_b32 v22, s18, v37, v19
	v_alignbit_b32 v21, v19, v37, 16
	v_pack_b32_f16 v20, v23, v36
	v_pk_add_f16 v19, v17, v10
	v_pk_add_f16 v10, v10, v17 neg_lo:[0,1] neg_hi:[0,1]
	v_alignbit_b32 v23, v66, v14, 16
	v_sub_f16_e32 v11, v25, v11
	ds_write_b96 v111, v[20:22]
	ds_write_b16 v111, v11 offset:12
	v_add_f16_sdwa v15, v66, v14 dst_sel:DWORD dst_unused:UNUSED_PAD src0_sel:DWORD src1_sel:WORD_1
	v_add_f16_sdwa v17, v19, v68 dst_sel:DWORD dst_unused:UNUSED_PAD src0_sel:WORD_1 src1_sel:DWORD
	v_sub_f16_e32 v21, v66, v14
	v_pk_add_f16 v23, v14, v23 neg_lo:[0,1] neg_hi:[0,1]
	v_pack_b32_f16 v36, v69, v10
	v_sub_f16_e32 v112, v26, v24
	v_add_f16_e32 v117, v24, v26
	v_sub_f16_sdwa v20, v68, v19 dst_sel:DWORD dst_unused:UNUSED_PAD src0_sel:DWORD src1_sel:WORD_1
	v_sub_f16_sdwa v22, v19, v19 dst_sel:DWORD dst_unused:UNUSED_PAD src0_sel:WORD_1 src1_sel:DWORD
	v_sub_f16_e32 v24, v19, v68
	v_add_f16_sdwa v25, v18, v18 dst_sel:DWORD dst_unused:UNUSED_PAD src0_sel:WORD_1 src1_sel:DWORD
	v_add_f16_e32 v26, v69, v10
	v_sub_f16_sdwa v34, v18, v18 dst_sel:DWORD dst_unused:UNUSED_PAD src0_sel:DWORD src1_sel:WORD_1
	v_sub_f16_e32 v35, v67, v18
	v_pk_add_f16 v36, v10, v36 neg_lo:[0,1] neg_hi:[0,1]
	v_sub_f16_sdwa v18, v18, v67 dst_sel:DWORD dst_unused:UNUSED_PAD src0_sel:WORD_1 src1_sel:DWORD
	v_sub_f16_sdwa v37, v69, v10 dst_sel:DWORD dst_unused:UNUSED_PAD src0_sel:DWORD src1_sel:WORD_1
	v_add_f16_e32 v14, v15, v14
	v_add_f16_e32 v15, v17, v19
	v_mul_f16_e32 v19, 0xba52, v21
	v_pk_mul_f16 v38, v23, s15
	v_add_f16_e32 v17, v67, v25
	v_add_f16_sdwa v10, v10, v26 dst_sel:DWORD dst_unused:UNUSED_PAD src0_sel:WORD_1 src1_sel:DWORD
	v_add_f16_e32 v25, v14, v7
	v_add_f16_sdwa v7, v15, v7 dst_sel:DWORD dst_unused:UNUSED_PAD src0_sel:DWORD src1_sel:WORD_1
	v_mul_f16_e32 v26, 0x3a52, v22
	v_mul_f16_e32 v24, 0x2b26, v24
	;; [unrolled: 1-line block ×3, first 2 shown]
	v_pk_mul_f16 v40, v36, s14
	v_mul_f16_e32 v41, 0x3b00, v18
	v_mul_f16_e32 v37, 0x3b00, v37
	v_alignbit_b32 v19, v19, v38, 16
	v_mul_f16_e32 v39, 0x370e, v10
	v_fma_f16 v14, v14, s10, v25
	v_fma_f16 v15, v15, s10, v7
	;; [unrolled: 1-line block ×4, first 2 shown]
	v_fma_f16 v24, v20, s4, -v24
	v_pk_fma_f16 v19, v23, s15, v19 neg_lo:[1,0,0] neg_hi:[1,0,0]
	v_fma_f16 v20, v20, s5, -v26
	v_fma_f16 v23, v35, s11, v34
	v_add_f16_sdwa v26, v40, v40 dst_sel:DWORD dst_unused:UNUSED_PAD src0_sel:WORD_1 src1_sel:DWORD
	v_fma_f16 v18, v18, s1, -v34
	v_fma_f16 v34, v35, s6, -v41
	v_pk_fma_f16 v35, v36, s14, v37 op_sel_hi:[1,1,0] neg_lo:[1,0,0] neg_hi:[1,0,1]
	v_add_f16_e32 v21, v21, v14
	v_add_f16_e32 v22, v22, v15
	;; [unrolled: 1-line block ×3, first 2 shown]
	v_pk_add_f16 v14, v19, v14 op_sel_hi:[1,0]
	v_add_f16_e32 v15, v20, v15
	v_fma_f16 v10, v10, s0, v26
	v_pk_add_f16 v20, v35, v39 op_sel_hi:[1,0]
	v_fma_f16 v19, v17, s0, v23
	v_fma_f16 v18, v17, s0, v18
	v_add_f16_e32 v23, v21, v10
	v_pk_add_f16 v26, v14, v20
	v_pk_add_f16 v14, v14, v20 neg_lo:[0,1] neg_hi:[0,1]
	v_perm_b32 v2, v2, v3, s17
	v_mad_i32_i24 v11, v79, 14, 0
	v_sub_f16_e32 v118, v22, v19
	v_add_f16_e32 v120, v18, v24
	v_sub_f16_e32 v121, v24, v18
	v_sub_f16_e32 v10, v21, v10
	v_add_f16_e32 v122, v19, v22
	v_bfi_b32 v20, s18, v26, v14
	v_alignbit_b32 v19, v14, v26, 16
	v_pack_b32_f16 v18, v25, v23
	v_perm_b32 v1, v1, v3, s16
	v_pk_add_f16 v3, v2, v4 neg_lo:[0,1] neg_hi:[0,1]
	v_pk_add_f16 v2, v4, v2
	ds_write_b96 v11, v[18:20]
	ds_write_b16 v11, v10 offset:12
	v_pk_add_f16 v10, v5, v1
	v_alignbit_b32 v20, v70, v2, 16
	v_fma_f16 v17, v17, s0, v34
	v_pk_add_f16 v1, v1, v5 neg_lo:[0,1] neg_hi:[0,1]
	v_add_f16_sdwa v4, v70, v2 dst_sel:DWORD dst_unused:UNUSED_PAD src0_sel:DWORD src1_sel:WORD_1
	v_add_f16_sdwa v5, v10, v71 dst_sel:DWORD dst_unused:UNUSED_PAD src0_sel:WORD_1 src1_sel:DWORD
	v_pk_add_f16 v20, v2, v20 neg_lo:[0,1] neg_hi:[0,1]
	v_add_f16_sdwa v22, v3, v3 dst_sel:DWORD dst_unused:UNUSED_PAD src0_sel:WORD_1 src1_sel:DWORD
	v_sub_f16_e32 v119, v15, v17
	v_add_f16_e32 v15, v17, v15
	v_sub_f16_e32 v17, v70, v2
	v_pack_b32_f16 v26, v72, v1
	v_add_f16_e32 v2, v4, v2
	v_add_f16_e32 v4, v5, v10
	;; [unrolled: 1-line block ×3, first 2 shown]
	v_pk_mul_f16 v22, v20, s15
	v_sub_f16_sdwa v19, v10, v10 dst_sel:DWORD dst_unused:UNUSED_PAD src0_sel:WORD_1 src1_sel:DWORD
	v_sub_f16_e32 v21, v10, v71
	v_add_f16_e32 v23, v72, v1
	v_sub_f16_sdwa v24, v3, v3 dst_sel:DWORD dst_unused:UNUSED_PAD src0_sel:DWORD src1_sel:WORD_1
	v_pk_add_f16 v26, v1, v26 neg_lo:[0,1] neg_hi:[0,1]
	v_sub_f16_sdwa v34, v72, v1 dst_sel:DWORD dst_unused:UNUSED_PAD src0_sel:DWORD src1_sel:WORD_1
	v_fma_f16 v36, v17, s7, v22
	v_mul_f16_e32 v17, 0xba52, v17
	v_sub_f16_sdwa v14, v71, v10 dst_sel:DWORD dst_unused:UNUSED_PAD src0_sel:DWORD src1_sel:WORD_1
	v_sub_f16_e32 v25, v33, v3
	v_sub_f16_sdwa v3, v3, v33 dst_sel:DWORD dst_unused:UNUSED_PAD src0_sel:WORD_1 src1_sel:DWORD
	v_add_f16_sdwa v1, v1, v23 dst_sel:DWORD dst_unused:UNUSED_PAD src0_sel:WORD_1 src1_sel:DWORD
	v_add_f16_e32 v10, v2, v0
	v_add_f16_sdwa v123, v4, v0 dst_sel:DWORD dst_unused:UNUSED_PAD src0_sel:DWORD src1_sel:WORD_1
	v_mul_f16_e32 v0, 0x3a52, v19
	v_mul_f16_e32 v21, 0x2b26, v21
	;; [unrolled: 1-line block ×3, first 2 shown]
	v_pk_mul_f16 v33, v26, s14
	v_mul_f16_e32 v34, 0x3b00, v34
	v_alignbit_b32 v17, v17, v22, 16
	v_mul_f16_e32 v23, 0x370e, v1
	v_mul_f16_e32 v35, 0x3b00, v3
	v_fma_f16 v2, v2, s10, v10
	v_fma_f16 v4, v4, s10, v123
	;; [unrolled: 1-line block ×3, first 2 shown]
	v_fma_f16 v21, v14, s4, -v21
	v_pk_fma_f16 v17, v20, s15, v17 neg_lo:[1,0,0] neg_hi:[1,0,0]
	v_fma_f16 v0, v14, s5, -v0
	v_fma_f16 v14, v25, s11, v24
	v_add_f16_sdwa v20, v33, v33 dst_sel:DWORD dst_unused:UNUSED_PAD src0_sel:WORD_1 src1_sel:DWORD
	v_fma_f16 v3, v3, s1, -v24
	v_pk_fma_f16 v24, v26, s14, v34 op_sel_hi:[1,1,0] neg_lo:[1,0,0] neg_hi:[1,0,1]
	v_fma_f16 v22, v25, s6, -v35
	v_add_f16_e32 v25, v36, v2
	v_add_f16_e32 v19, v19, v4
	;; [unrolled: 1-line block ×3, first 2 shown]
	v_pk_add_f16 v2, v17, v2 op_sel_hi:[1,0]
	v_add_f16_e32 v0, v0, v4
	v_fma_f16 v4, v5, s0, v14
	v_fma_f16 v1, v1, s0, v20
	v_pk_add_f16 v14, v24, v23 op_sel_hi:[1,0]
	v_fma_f16 v3, v5, s0, v3
	v_fma_f16 v5, v5, s0, v22
	v_add_f16_e32 v17, v25, v1
	v_pk_add_f16 v20, v2, v14
	v_pk_add_f16 v14, v2, v14 neg_lo:[0,1] neg_hi:[0,1]
	v_mad_i32_i24 v18, v80, 14, 0
	v_sub_f16_e32 v125, v0, v5
	v_add_f16_e32 v126, v3, v21
	v_sub_f16_e32 v3, v21, v3
	v_add_f16_e32 v5, v5, v0
	v_sub_f16_e32 v21, v25, v1
	v_bfi_b32 v2, s18, v20, v14
	v_alignbit_b32 v1, v14, v20, 16
	v_pack_b32_f16 v0, v10, v17
	ds_write_b96 v18, v[0:2]
	ds_write_b16 v18, v21 offset:12
	v_lshl_add_u32 v17, v74, 1, 0
	v_lshl_add_u32 v21, v77, 1, 0
	v_mad_i32_i24 v24, v80, -12, v18
	v_pack_b32_f16 v2, v32, v87
	v_pack_b32_f16 v1, v30, v31
	;; [unrolled: 1-line block ×3, first 2 shown]
	v_sub_f16_e32 v124, v19, v4
	v_add_f16_e32 v4, v4, v19
	s_waitcnt lgkmcnt(0)
	; wave barrier
	s_waitcnt lgkmcnt(0)
	v_lshl_add_u32 v19, v16, 1, 0
	v_lshl_add_u32 v20, v76, 1, 0
	ds_read_u16 v45, v17 offset:3626
	ds_read_u16 v44, v17 offset:4312
	;; [unrolled: 1-line block ×3, first 2 shown]
	v_lshl_add_u32 v22, v78, 1, 0
	v_lshl_add_u32 v23, v79, 1, 0
	ds_read_u16 v34, v21
	ds_read_u16 v33, v22
	;; [unrolled: 1-line block ×3, first 2 shown]
	ds_read_u16 v47, v17 offset:1372
	ds_read_u16 v52, v17 offset:1470
	;; [unrolled: 1-line block ×20, first 2 shown]
	ds_read_u16 v25, v24
	ds_read_u16 v37, v17
	ds_read_u16 v48, v17 offset:686
	ds_read_u16 v86, v17 offset:784
	;; [unrolled: 1-line block ×18, first 2 shown]
	ds_read_u16 v35, v20
	ds_read_u16 v36, v19
	ds_read_u16 v41, v17 offset:4704
	s_waitcnt lgkmcnt(0)
	; wave barrier
	s_waitcnt lgkmcnt(0)
	ds_write_b96 v6, v[0:2]
	ds_write_b16 v6, v27 offset:12
	v_pack_b32_f16 v2, v94, v95
	v_pack_b32_f16 v1, v90, v93
	v_pack_b32_f16 v0, v88, v89
	ds_write_b96 v29, v[0:2]
	ds_write_b16 v29, v91 offset:12
	v_pack_b32_f16 v2, v100, v101
	v_pack_b32_f16 v1, v98, v99
	v_pack_b32_f16 v0, v96, v97
	;; [unrolled: 5-line block ×6, first 2 shown]
	v_mov_b32_e32 v95, 37
	ds_write_b96 v18, v[0:2]
	ds_write_b16 v18, v4 offset:12
	v_mul_lo_u16_sdwa v0, v74, v95 dst_sel:DWORD dst_unused:UNUSED_PAD src0_sel:BYTE_0 src1_sel:DWORD
	v_sub_u16_sdwa v1, v74, v0 dst_sel:DWORD dst_unused:UNUSED_PAD src0_sel:DWORD src1_sel:BYTE_1
	v_lshrrev_b16_e32 v1, 1, v1
	v_and_b32_e32 v1, 0x7f, v1
	v_add_u16_sdwa v0, v1, v0 dst_sel:DWORD dst_unused:UNUSED_PAD src0_sel:DWORD src1_sel:BYTE_1
	v_lshrrev_b16_e32 v27, 2, v0
	v_mul_lo_u16_e32 v0, 7, v27
	v_sub_u16_e32 v28, v74, v0
	v_mov_b32_e32 v97, 6
	v_mul_u32_u24_sdwa v0, v28, v97 dst_sel:DWORD dst_unused:UNUSED_PAD src0_sel:BYTE_0 src1_sel:DWORD
	v_lshlrev_b32_e32 v14, 2, v0
	s_waitcnt lgkmcnt(0)
	; wave barrier
	s_waitcnt lgkmcnt(0)
	global_load_dwordx4 v[4:7], v14, s[8:9]
	v_mul_lo_u16_sdwa v0, v16, v95 dst_sel:DWORD dst_unused:UNUSED_PAD src0_sel:BYTE_0 src1_sel:DWORD
	v_sub_u16_sdwa v1, v16, v0 dst_sel:DWORD dst_unused:UNUSED_PAD src0_sel:DWORD src1_sel:BYTE_1
	v_lshrrev_b16_e32 v1, 1, v1
	v_and_b32_e32 v1, 0x7f, v1
	v_add_u16_sdwa v0, v1, v0 dst_sel:DWORD dst_unused:UNUSED_PAD src0_sel:DWORD src1_sel:BYTE_1
	v_lshrrev_b16_e32 v29, 2, v0
	v_mul_lo_u16_e32 v0, 7, v29
	v_sub_u16_e32 v30, v16, v0
	v_mul_u32_u24_sdwa v0, v30, v97 dst_sel:DWORD dst_unused:UNUSED_PAD src0_sel:BYTE_0 src1_sel:DWORD
	v_lshlrev_b32_e32 v107, 2, v0
	global_load_dwordx4 v[0:3], v107, s[8:9]
	v_mul_lo_u16_sdwa v8, v76, v95 dst_sel:DWORD dst_unused:UNUSED_PAD src0_sel:BYTE_0 src1_sel:DWORD
	v_sub_u16_sdwa v9, v76, v8 dst_sel:DWORD dst_unused:UNUSED_PAD src0_sel:DWORD src1_sel:BYTE_1
	v_lshrrev_b16_e32 v9, 1, v9
	v_and_b32_e32 v9, 0x7f, v9
	v_add_u16_sdwa v8, v9, v8 dst_sel:DWORD dst_unused:UNUSED_PAD src0_sel:DWORD src1_sel:BYTE_1
	v_lshrrev_b16_e32 v31, 2, v8
	v_mul_lo_u16_e32 v8, 7, v31
	v_sub_u16_e32 v32, v76, v8
	v_mul_u32_u24_sdwa v8, v32, v97 dst_sel:DWORD dst_unused:UNUSED_PAD src0_sel:BYTE_0 src1_sel:DWORD
	v_lshlrev_b32_e32 v103, 2, v8
	global_load_dwordx4 v[8:11], v103, s[8:9]
	ds_read_u16 v87, v17 offset:3626
	ds_read_u16 v116, v17 offset:1372
	ds_read_u16 v109, v17 offset:1470
	ds_read_u16 v104, v17 offset:1568
	ds_read_u16 v99, v17 offset:1666
	ds_read_u16 v90, v17 offset:1764
	ds_read_u16 v88, v17 offset:1862
	ds_read_u16 v110, v17 offset:2156
	ds_read_u16 v105, v17 offset:2254
	ds_read_u16 v100, v17 offset:2352
	ds_read_u16 v92, v17 offset:2450
	ds_read_u16 v89, v17 offset:2548
	ds_read_u16 v119, v17 offset:686
	ds_read_u16 v115, v17 offset:784
	ds_read_u16 v112, v17 offset:882
	ds_read_u16 v108, v17 offset:980
	ds_read_u16 v102, v17 offset:1078
	ds_read_u16 v98, v17 offset:1176
	ds_read_u16 v91, v17 offset:1274
	ds_read_u16 v118, v17 offset:2058
	ds_read_u16 v93, v17 offset:1960
	ds_read_u16 v114, v17 offset:2842
	ds_read_u16 v117, v17 offset:2744
	ds_read_u16 v94, v17 offset:2646
	ds_read_u16 v113, v17 offset:2940
	ds_read_u16 v111, v17 offset:3038
	ds_read_u16 v106, v17 offset:3136
	ds_read_u16 v101, v17 offset:3234
	ds_read_u16 v96, v17 offset:3332
	s_movk_i32 s14, 0x2493
	global_load_dwordx2 v[14:15], v14, s[8:9] offset:16
	ds_read_u16 v134, v17
	global_load_dwordx2 v[132:133], v107, s[8:9] offset:16
	v_mul_u32_u24_e32 v27, 0x62, v27
	s_movk_i32 s15, 0x4f
	s_waitcnt vmcnt(4) lgkmcnt(14)
	v_mul_f16_sdwa v120, v119, v4 dst_sel:DWORD dst_unused:UNUSED_PAD src0_sel:DWORD src1_sel:WORD_1
	v_fma_f16 v135, v48, v4, -v120
	v_mul_f16_sdwa v48, v48, v4 dst_sel:DWORD dst_unused:UNUSED_PAD src0_sel:DWORD src1_sel:WORD_1
	v_fma_f16 v136, v119, v4, v48
	v_mul_f16_sdwa v4, v116, v5 dst_sel:DWORD dst_unused:UNUSED_PAD src0_sel:DWORD src1_sel:WORD_1
	v_fma_f16 v137, v47, v5, -v4
	v_mul_f16_sdwa v4, v47, v5 dst_sel:DWORD dst_unused:UNUSED_PAD src0_sel:DWORD src1_sel:WORD_1
	v_mul_lo_u16_sdwa v47, v77, v95 dst_sel:DWORD dst_unused:UNUSED_PAD src0_sel:BYTE_0 src1_sel:DWORD
	v_sub_u16_sdwa v48, v77, v47 dst_sel:DWORD dst_unused:UNUSED_PAD src0_sel:DWORD src1_sel:BYTE_1
	v_lshrrev_b16_e32 v48, 1, v48
	v_and_b32_e32 v48, 0x7f, v48
	v_add_u16_sdwa v47, v48, v47 dst_sel:DWORD dst_unused:UNUSED_PAD src0_sel:DWORD src1_sel:BYTE_1
	v_lshrrev_b16_e32 v47, 2, v47
	v_mul_lo_u16_e32 v48, 7, v47
	v_sub_u16_e32 v48, v77, v48
	v_mul_u32_u24_sdwa v119, v48, v97 dst_sel:DWORD dst_unused:UNUSED_PAD src0_sel:BYTE_0 src1_sel:DWORD
	v_lshlrev_b32_e32 v138, 2, v119
	global_load_dwordx4 v[120:123], v138, s[8:9]
	v_fma_f16 v139, v116, v5, v4
	s_waitcnt lgkmcnt(10)
	v_mul_f16_sdwa v4, v118, v6 dst_sel:DWORD dst_unused:UNUSED_PAD src0_sel:DWORD src1_sel:WORD_1
	v_fma_f16 v140, v50, v6, -v4
	v_mul_f16_sdwa v4, v50, v6 dst_sel:DWORD dst_unused:UNUSED_PAD src0_sel:DWORD src1_sel:WORD_1
	v_mul_lo_u16_sdwa v5, v78, v95 dst_sel:DWORD dst_unused:UNUSED_PAD src0_sel:BYTE_0 src1_sel:DWORD
	v_fma_f16 v141, v118, v6, v4
	v_sub_u16_sdwa v6, v78, v5 dst_sel:DWORD dst_unused:UNUSED_PAD src0_sel:DWORD src1_sel:BYTE_1
	v_lshrrev_b16_e32 v6, 1, v6
	v_and_b32_e32 v6, 0x7f, v6
	v_add_u16_sdwa v5, v6, v5 dst_sel:DWORD dst_unused:UNUSED_PAD src0_sel:DWORD src1_sel:BYTE_1
	s_waitcnt lgkmcnt(7)
	v_mul_f16_sdwa v4, v117, v7 dst_sel:DWORD dst_unused:UNUSED_PAD src0_sel:DWORD src1_sel:WORD_1
	v_lshrrev_b16_e32 v6, 2, v5
	v_mul_lo_u16_e32 v5, 7, v6
	v_fma_f16 v142, v51, v7, -v4
	v_mul_f16_sdwa v4, v51, v7 dst_sel:DWORD dst_unused:UNUSED_PAD src0_sel:DWORD src1_sel:WORD_1
	v_sub_u16_e32 v50, v78, v5
	v_fma_f16 v143, v117, v7, v4
	s_waitcnt vmcnt(4)
	v_mul_f16_sdwa v4, v115, v0 dst_sel:DWORD dst_unused:UNUSED_PAD src0_sel:DWORD src1_sel:WORD_1
	v_mul_u32_u24_sdwa v5, v50, v97 dst_sel:DWORD dst_unused:UNUSED_PAD src0_sel:BYTE_0 src1_sel:DWORD
	v_fma_f16 v144, v86, v0, -v4
	v_mul_u32_u24_sdwa v4, v79, s14 dst_sel:DWORD dst_unused:UNUSED_PAD src0_sel:WORD_0 src1_sel:DWORD
	v_lshlrev_b32_e32 v95, 2, v5
	v_sub_u16_sdwa v5, v79, v4 dst_sel:DWORD dst_unused:UNUSED_PAD src0_sel:DWORD src1_sel:WORD_1
	v_lshrrev_b16_e32 v5, 1, v5
	global_load_dwordx4 v[124:127], v95, s[8:9]
	v_add_u16_sdwa v4, v5, v4 dst_sel:DWORD dst_unused:UNUSED_PAD src0_sel:DWORD src1_sel:WORD_1
	v_lshrrev_b16_e32 v7, 2, v4
	v_mul_lo_u16_e32 v4, 7, v7
	v_sub_u16_e32 v51, v79, v4
	v_mul_u32_u24_e32 v4, 6, v51
	v_lshlrev_b32_e32 v145, 2, v4
	v_mul_f16_sdwa v4, v86, v0 dst_sel:DWORD dst_unused:UNUSED_PAD src0_sel:DWORD src1_sel:WORD_1
	v_fma_f16 v146, v115, v0, v4
	v_mul_f16_sdwa v0, v109, v1 dst_sel:DWORD dst_unused:UNUSED_PAD src0_sel:DWORD src1_sel:WORD_1
	v_fma_f16 v147, v52, v1, -v0
	v_mul_u32_u24_sdwa v0, v80, s14 dst_sel:DWORD dst_unused:UNUSED_PAD src0_sel:WORD_0 src1_sel:DWORD
	global_load_dwordx4 v[116:119], v145, s[8:9]
	v_sub_u16_sdwa v4, v80, v0 dst_sel:DWORD dst_unused:UNUSED_PAD src0_sel:DWORD src1_sel:WORD_1
	v_lshrrev_b16_e32 v4, 1, v4
	v_add_u16_sdwa v0, v4, v0 dst_sel:DWORD dst_unused:UNUSED_PAD src0_sel:DWORD src1_sel:WORD_1
	v_lshrrev_b16_e32 v0, 2, v0
	v_mul_lo_u16_e32 v4, 7, v0
	v_mul_f16_sdwa v86, v52, v1 dst_sel:DWORD dst_unused:UNUSED_PAD src0_sel:DWORD src1_sel:WORD_1
	v_sub_u16_e32 v52, v80, v4
	v_mul_u32_u24_e32 v4, 6, v52
	v_lshlrev_b32_e32 v97, 2, v4
	global_load_dwordx2 v[4:5], v97, s[8:9] offset:16
	global_load_dwordx4 v[128:131], v97, s[8:9]
	v_fma_f16 v148, v109, v1, v86
	v_mul_f16_sdwa v1, v110, v2 dst_sel:DWORD dst_unused:UNUSED_PAD src0_sel:DWORD src1_sel:WORD_1
	v_fma_f16 v149, v83, v2, -v1
	v_mul_f16_sdwa v1, v83, v2 dst_sel:DWORD dst_unused:UNUSED_PAD src0_sel:DWORD src1_sel:WORD_1
	v_fma_f16 v150, v110, v2, v1
	v_mul_f16_sdwa v1, v114, v3 dst_sel:DWORD dst_unused:UNUSED_PAD src0_sel:DWORD src1_sel:WORD_1
	v_fma_f16 v151, v85, v3, -v1
	v_mul_f16_sdwa v1, v85, v3 dst_sel:DWORD dst_unused:UNUSED_PAD src0_sel:DWORD src1_sel:WORD_1
	v_fma_f16 v152, v114, v3, v1
	global_load_dwordx2 v[2:3], v103, s[8:9] offset:16
	s_waitcnt vmcnt(8)
	v_mul_f16_sdwa v1, v112, v8 dst_sel:DWORD dst_unused:UNUSED_PAD src0_sel:DWORD src1_sel:WORD_1
	v_fma_f16 v153, v84, v8, -v1
	v_mul_f16_sdwa v1, v84, v8 dst_sel:DWORD dst_unused:UNUSED_PAD src0_sel:DWORD src1_sel:WORD_1
	v_fma_f16 v154, v112, v8, v1
	v_mul_f16_sdwa v1, v104, v9 dst_sel:DWORD dst_unused:UNUSED_PAD src0_sel:DWORD src1_sel:WORD_1
	v_fma_f16 v155, v72, v9, -v1
	v_mul_f16_sdwa v1, v72, v9 dst_sel:DWORD dst_unused:UNUSED_PAD src0_sel:DWORD src1_sel:WORD_1
	v_fma_f16 v156, v104, v9, v1
	v_mul_f16_sdwa v1, v105, v10 dst_sel:DWORD dst_unused:UNUSED_PAD src0_sel:DWORD src1_sel:WORD_1
	s_waitcnt lgkmcnt(5)
	v_mul_f16_sdwa v8, v113, v11 dst_sel:DWORD dst_unused:UNUSED_PAD src0_sel:DWORD src1_sel:WORD_1
	v_fma_f16 v157, v81, v10, -v1
	v_mul_f16_sdwa v1, v81, v10 dst_sel:DWORD dst_unused:UNUSED_PAD src0_sel:DWORD src1_sel:WORD_1
	v_fma_f16 v159, v73, v11, -v8
	v_mul_f16_sdwa v8, v73, v11 dst_sel:DWORD dst_unused:UNUSED_PAD src0_sel:DWORD src1_sel:WORD_1
	v_fma_f16 v158, v105, v10, v1
	ds_read_u16 v1, v17 offset:3528
	ds_read_u16 v104, v17 offset:3430
	v_fma_f16 v160, v113, v11, v8
	global_load_dwordx2 v[8:9], v138, s[8:9] offset:16
	global_load_dwordx2 v[84:85], v145, s[8:9] offset:16
	s_movk_i32 s14, 0x2b26
	v_mul_u32_u24_e32 v6, 0x62, v6
	v_mul_u32_u24_e32 v7, 0x62, v7
	s_waitcnt vmcnt(7)
	v_mul_f16_sdwa v10, v108, v120 dst_sel:DWORD dst_unused:UNUSED_PAD src0_sel:DWORD src1_sel:WORD_1
	v_fma_f16 v110, v82, v120, -v10
	v_mul_f16_sdwa v10, v82, v120 dst_sel:DWORD dst_unused:UNUSED_PAD src0_sel:DWORD src1_sel:WORD_1
	global_load_dwordx2 v[82:83], v95, s[8:9] offset:16
	v_fma_f16 v113, v108, v120, v10
	v_mul_f16_sdwa v10, v99, v121 dst_sel:DWORD dst_unused:UNUSED_PAD src0_sel:DWORD src1_sel:WORD_1
	v_fma_f16 v108, v68, v121, -v10
	v_mul_f16_sdwa v10, v68, v121 dst_sel:DWORD dst_unused:UNUSED_PAD src0_sel:DWORD src1_sel:WORD_1
	v_fma_f16 v109, v99, v121, v10
	v_mul_f16_sdwa v10, v100, v122 dst_sel:DWORD dst_unused:UNUSED_PAD src0_sel:DWORD src1_sel:WORD_1
	v_fma_f16 v105, v69, v122, -v10
	v_mul_f16_sdwa v10, v69, v122 dst_sel:DWORD dst_unused:UNUSED_PAD src0_sel:DWORD src1_sel:WORD_1
	v_fma_f16 v107, v100, v122, v10
	s_waitcnt lgkmcnt(6)
	v_mul_f16_sdwa v10, v111, v123 dst_sel:DWORD dst_unused:UNUSED_PAD src0_sel:DWORD src1_sel:WORD_1
	v_fma_f16 v114, v70, v123, -v10
	v_mul_f16_sdwa v10, v70, v123 dst_sel:DWORD dst_unused:UNUSED_PAD src0_sel:DWORD src1_sel:WORD_1
	v_fma_f16 v115, v111, v123, v10
	v_sub_f16_e32 v120, v159, v157
	v_add_f16_e32 v121, v158, v160
	v_sub_f16_e32 v122, v160, v158
	v_mul_u32_u24_e32 v0, 0x62, v0
	s_waitcnt vmcnt(7)
	v_mul_f16_sdwa v10, v102, v124 dst_sel:DWORD dst_unused:UNUSED_PAD src0_sel:DWORD src1_sel:WORD_1
	v_fma_f16 v99, v71, v124, -v10
	v_mul_f16_sdwa v10, v71, v124 dst_sel:DWORD dst_unused:UNUSED_PAD src0_sel:DWORD src1_sel:WORD_1
	v_fma_f16 v100, v102, v124, v10
	v_mul_f16_sdwa v10, v90, v125 dst_sel:DWORD dst_unused:UNUSED_PAD src0_sel:DWORD src1_sel:WORD_1
	v_fma_f16 v86, v64, v125, -v10
	v_mul_f16_sdwa v10, v64, v125 dst_sel:DWORD dst_unused:UNUSED_PAD src0_sel:DWORD src1_sel:WORD_1
	v_fma_f16 v97, v90, v125, v10
	;; [unrolled: 4-line block ×3, first 2 shown]
	s_waitcnt lgkmcnt(5)
	v_mul_f16_sdwa v10, v106, v127 dst_sel:DWORD dst_unused:UNUSED_PAD src0_sel:DWORD src1_sel:WORD_1
	v_fma_f16 v102, v66, v127, -v10
	v_mul_f16_sdwa v10, v66, v127 dst_sel:DWORD dst_unused:UNUSED_PAD src0_sel:DWORD src1_sel:WORD_1
	v_fma_f16 v103, v106, v127, v10
	s_waitcnt vmcnt(6)
	v_mul_f16_sdwa v10, v98, v116 dst_sel:DWORD dst_unused:UNUSED_PAD src0_sel:DWORD src1_sel:WORD_1
	v_fma_f16 v68, v67, v116, -v10
	v_mul_f16_sdwa v10, v67, v116 dst_sel:DWORD dst_unused:UNUSED_PAD src0_sel:DWORD src1_sel:WORD_1
	v_fma_f16 v69, v98, v116, v10
	v_mul_f16_sdwa v10, v88, v117 dst_sel:DWORD dst_unused:UNUSED_PAD src0_sel:DWORD src1_sel:WORD_1
	v_fma_f16 v66, v56, v117, -v10
	v_mul_f16_sdwa v10, v56, v117 dst_sel:DWORD dst_unused:UNUSED_PAD src0_sel:DWORD src1_sel:WORD_1
	v_fma_f16 v67, v88, v117, v10
	;; [unrolled: 4-line block ×3, first 2 shown]
	s_waitcnt lgkmcnt(4)
	v_mul_f16_sdwa v10, v101, v119 dst_sel:DWORD dst_unused:UNUSED_PAD src0_sel:DWORD src1_sel:WORD_1
	v_fma_f16 v70, v58, v119, -v10
	v_mul_f16_sdwa v10, v58, v119 dst_sel:DWORD dst_unused:UNUSED_PAD src0_sel:DWORD src1_sel:WORD_1
	v_fma_f16 v71, v101, v119, v10
	s_waitcnt vmcnt(4)
	v_mul_f16_sdwa v10, v91, v128 dst_sel:DWORD dst_unused:UNUSED_PAD src0_sel:DWORD src1_sel:WORD_1
	v_fma_f16 v58, v63, v128, -v10
	v_mul_f16_sdwa v10, v63, v128 dst_sel:DWORD dst_unused:UNUSED_PAD src0_sel:DWORD src1_sel:WORD_1
	v_fma_f16 v63, v91, v128, v10
	v_mul_f16_sdwa v10, v93, v129 dst_sel:DWORD dst_unused:UNUSED_PAD src0_sel:DWORD src1_sel:WORD_1
	v_fma_f16 v56, v62, v129, -v10
	v_mul_f16_sdwa v10, v62, v129 dst_sel:DWORD dst_unused:UNUSED_PAD src0_sel:DWORD src1_sel:WORD_1
	s_waitcnt lgkmcnt(0)
	v_mul_f16_sdwa v62, v104, v14 dst_sel:DWORD dst_unused:UNUSED_PAD src0_sel:DWORD src1_sel:WORD_1
	v_fma_f16 v62, v59, v14, -v62
	v_mul_f16_sdwa v59, v59, v14 dst_sel:DWORD dst_unused:UNUSED_PAD src0_sel:DWORD src1_sel:WORD_1
	v_fma_f16 v14, v104, v14, v59
	ds_read_u16 v59, v17 offset:4116
	ds_read_u16 v73, v17 offset:4214
	;; [unrolled: 1-line block ×5, first 2 shown]
	s_waitcnt lgkmcnt(4)
	v_mul_f16_sdwa v91, v59, v15 dst_sel:DWORD dst_unused:UNUSED_PAD src0_sel:DWORD src1_sel:WORD_1
	v_fma_f16 v91, v55, v15, -v91
	v_mul_f16_sdwa v55, v55, v15 dst_sel:DWORD dst_unused:UNUSED_PAD src0_sel:DWORD src1_sel:WORD_1
	v_fma_f16 v15, v59, v15, v55
	v_mul_f16_sdwa v55, v1, v132 dst_sel:DWORD dst_unused:UNUSED_PAD src0_sel:DWORD src1_sel:WORD_1
	v_fma_f16 v55, v54, v132, -v55
	v_mul_f16_sdwa v54, v54, v132 dst_sel:DWORD dst_unused:UNUSED_PAD src0_sel:DWORD src1_sel:WORD_1
	v_fma_f16 v59, v1, v132, v54
	s_waitcnt lgkmcnt(3)
	v_mul_f16_sdwa v1, v73, v133 dst_sel:DWORD dst_unused:UNUSED_PAD src0_sel:DWORD src1_sel:WORD_1
	v_fma_f16 v92, v53, v133, -v1
	v_mul_f16_sdwa v1, v53, v133 dst_sel:DWORD dst_unused:UNUSED_PAD src0_sel:DWORD src1_sel:WORD_1
	v_fma_f16 v73, v73, v133, v1
	s_waitcnt vmcnt(3)
	v_mul_f16_sdwa v1, v87, v2 dst_sel:DWORD dst_unused:UNUSED_PAD src0_sel:DWORD src1_sel:WORD_1
	v_fma_f16 v57, v93, v129, v10
	v_mul_f16_sdwa v11, v61, v130 dst_sel:DWORD dst_unused:UNUSED_PAD src0_sel:DWORD src1_sel:WORD_1
	v_fma_f16 v93, v45, v2, -v1
	v_mul_f16_sdwa v1, v45, v2 dst_sel:DWORD dst_unused:UNUSED_PAD src0_sel:DWORD src1_sel:WORD_1
	v_mul_f16_sdwa v10, v94, v130 dst_sel:DWORD dst_unused:UNUSED_PAD src0_sel:DWORD src1_sel:WORD_1
	v_fma_f16 v11, v94, v130, v11
	v_fma_f16 v94, v87, v2, v1
	s_waitcnt lgkmcnt(2)
	v_mul_f16_sdwa v1, v88, v3 dst_sel:DWORD dst_unused:UNUSED_PAD src0_sel:DWORD src1_sel:WORD_1
	v_fma_f16 v95, v44, v3, -v1
	ds_read_u16 v1, v17 offset:3724
	v_mul_f16_sdwa v2, v44, v3 dst_sel:DWORD dst_unused:UNUSED_PAD src0_sel:DWORD src1_sel:WORD_1
	v_fma_f16 v106, v88, v3, v2
	ds_read_u16 v2, v17 offset:3822
	ds_read_u16 v3, v17 offset:3920
	v_fma_f16 v10, v61, v130, -v10
	s_waitcnt vmcnt(2) lgkmcnt(2)
	v_mul_f16_sdwa v44, v1, v8 dst_sel:DWORD dst_unused:UNUSED_PAD src0_sel:DWORD src1_sel:WORD_1
	v_fma_f16 v124, v49, v8, -v44
	v_mul_f16_sdwa v44, v49, v8 dst_sel:DWORD dst_unused:UNUSED_PAD src0_sel:DWORD src1_sel:WORD_1
	v_fma_f16 v125, v1, v8, v44
	v_mul_f16_sdwa v1, v89, v9 dst_sel:DWORD dst_unused:UNUSED_PAD src0_sel:DWORD src1_sel:WORD_1
	v_fma_f16 v126, v43, v9, -v1
	v_mul_f16_sdwa v1, v43, v9 dst_sel:DWORD dst_unused:UNUSED_PAD src0_sel:DWORD src1_sel:WORD_1
	v_fma_f16 v127, v89, v9, v1
	s_waitcnt vmcnt(0) lgkmcnt(1)
	v_mul_f16_sdwa v1, v2, v82 dst_sel:DWORD dst_unused:UNUSED_PAD src0_sel:DWORD src1_sel:WORD_1
	v_fma_f16 v101, v46, v82, -v1
	v_mul_f16_sdwa v1, v46, v82 dst_sel:DWORD dst_unused:UNUSED_PAD src0_sel:DWORD src1_sel:WORD_1
	v_fma_f16 v104, v2, v82, v1
	ds_read_u16 v98, v21
	ds_read_u16 v54, v22
	;; [unrolled: 1-line block ×3, first 2 shown]
	ds_read_u16 v1, v17 offset:4508
	ds_read_u16 v2, v17 offset:4606
	;; [unrolled: 1-line block ×3, first 2 shown]
	ds_read_u16 v89, v20
	ds_read_u16 v82, v19
	s_waitcnt lgkmcnt(4)
	v_mul_f16_sdwa v9, v1, v83 dst_sel:DWORD dst_unused:UNUSED_PAD src0_sel:DWORD src1_sel:WORD_1
	v_fma_f16 v128, v40, v83, -v9
	v_mul_f16_sdwa v9, v40, v83 dst_sel:DWORD dst_unused:UNUSED_PAD src0_sel:DWORD src1_sel:WORD_1
	v_fma_f16 v129, v1, v83, v9
	v_mul_f16_sdwa v1, v3, v84 dst_sel:DWORD dst_unused:UNUSED_PAD src0_sel:DWORD src1_sel:WORD_1
	v_fma_f16 v111, v39, v84, -v1
	v_mul_f16_sdwa v1, v39, v84 dst_sel:DWORD dst_unused:UNUSED_PAD src0_sel:DWORD src1_sel:WORD_1
	v_fma_f16 v112, v3, v84, v1
	s_waitcnt lgkmcnt(3)
	v_mul_f16_sdwa v1, v2, v85 dst_sel:DWORD dst_unused:UNUSED_PAD src0_sel:DWORD src1_sel:WORD_1
	v_fma_f16 v116, v38, v85, -v1
	v_mul_f16_sdwa v1, v38, v85 dst_sel:DWORD dst_unused:UNUSED_PAD src0_sel:DWORD src1_sel:WORD_1
	v_fma_f16 v117, v2, v85, v1
	v_mul_f16_sdwa v1, v90, v4 dst_sel:DWORD dst_unused:UNUSED_PAD src0_sel:DWORD src1_sel:WORD_1
	v_fma_f16 v45, v42, v4, -v1
	v_mul_f16_sdwa v1, v42, v4 dst_sel:DWORD dst_unused:UNUSED_PAD src0_sel:DWORD src1_sel:WORD_1
	v_fma_f16 v46, v90, v4, v1
	s_waitcnt lgkmcnt(2)
	v_mul_f16_sdwa v1, v8, v5 dst_sel:DWORD dst_unused:UNUSED_PAD src0_sel:DWORD src1_sel:WORD_1
	v_fma_f16 v49, v41, v5, -v1
	v_mul_f16_sdwa v1, v41, v5 dst_sel:DWORD dst_unused:UNUSED_PAD src0_sel:DWORD src1_sel:WORD_1
	v_fma_f16 v53, v8, v5, v1
	v_add_f16_e32 v1, v135, v91
	v_add_f16_e32 v5, v137, v62
	;; [unrolled: 1-line block ×3, first 2 shown]
	v_sub_f16_e32 v4, v136, v15
	v_add_f16_e32 v9, v139, v14
	v_add_f16_e32 v15, v140, v142
	;; [unrolled: 1-line block ×3, first 2 shown]
	v_sub_f16_e32 v8, v137, v62
	v_sub_f16_e32 v38, v142, v140
	v_add_f16_e32 v39, v141, v143
	v_sub_f16_e32 v42, v5, v1
	v_sub_f16_e32 v1, v1, v15
	;; [unrolled: 1-line block ×3, first 2 shown]
	v_add_f16_e32 v15, v15, v41
	v_add_f16_e32 v41, v9, v3
	v_sub_f16_e32 v2, v135, v91
	v_sub_f16_e32 v14, v139, v14
	;; [unrolled: 1-line block ×6, first 2 shown]
	v_add_f16_e32 v39, v39, v41
	v_add_f16_e32 v41, v38, v8
	v_sub_f16_e32 v62, v38, v8
	v_sub_f16_e32 v38, v2, v38
	;; [unrolled: 1-line block ×3, first 2 shown]
	v_add_f16_e32 v2, v41, v2
	v_add_f16_e32 v41, v40, v14
	v_sub_f16_e32 v83, v40, v14
	v_sub_f16_e32 v40, v4, v40
	;; [unrolled: 1-line block ×3, first 2 shown]
	v_add_f16_e32 v4, v41, v4
	v_mul_f16_e32 v1, 0x3a52, v1
	v_mul_f16_e32 v41, 0x2b26, v5
	v_fma_f16 v5, v5, s14, v1
	v_fma_f16 v41, v42, s4, -v41
	v_fma_f16 v1, v42, s5, -v1
	v_mul_f16_e32 v3, 0x3a52, v3
	v_mul_f16_e32 v42, 0x2b26, v9
	v_fma_f16 v9, v9, s14, v3
	v_fma_f16 v42, v44, s4, -v42
	v_fma_f16 v3, v44, s5, -v3
	v_mul_f16_e32 v44, 0xb846, v62
	v_mul_f16_e32 v62, 0x3b00, v8
	v_add_f16_e32 v37, v37, v15
	v_fma_f16 v8, v8, s1, -v44
	v_fma_f16 v44, v38, s11, v44
	v_fma_f16 v38, v38, s6, -v62
	v_mul_f16_e32 v62, 0xb846, v83
	v_mul_f16_e32 v83, 0x3b00, v14
	v_fma_f16 v15, v15, s10, v37
	v_fma_f16 v14, v14, s1, -v62
	v_fma_f16 v62, v40, s11, v62
	v_fma_f16 v40, v40, s6, -v83
	v_add_f16_e32 v83, v5, v15
	v_add_f16_e32 v5, v41, v15
	;; [unrolled: 1-line block ×4, first 2 shown]
	v_fma_f16 v39, v39, s10, v1
	v_add_f16_e32 v84, v9, v39
	v_add_f16_e32 v9, v42, v39
	;; [unrolled: 1-line block ×3, first 2 shown]
	v_fma_f16 v85, v2, s0, v44
	v_fma_f16 v3, v2, s0, v8
	;; [unrolled: 1-line block ×6, first 2 shown]
	v_sub_f16_e32 v38, v5, v2
	v_add_f16_e32 v39, v2, v5
	v_add_f16_e32 v41, v4, v15
	v_sub_f16_e32 v40, v15, v4
	v_sub_f16_e32 v5, v42, v8
	v_add_f16_e32 v4, v8, v42
	v_add_f16_e32 v44, v62, v83
	v_sub_f16_e32 v42, v83, v62
	v_add_f16_e32 v14, v144, v92
	v_add_f16_e32 v83, v147, v55
	v_mul_f16_sdwa v61, v96, v131 dst_sel:DWORD dst_unused:UNUSED_PAD src0_sel:DWORD src1_sel:WORD_1
	v_add_f16_e32 v2, v3, v9
	v_sub_f16_e32 v3, v9, v3
	v_sub_f16_e32 v9, v84, v85
	v_add_f16_e32 v8, v85, v84
	v_add_f16_e32 v62, v146, v73
	;; [unrolled: 1-line block ×5, first 2 shown]
	v_fma_f16 v61, v60, v131, -v61
	v_mul_f16_sdwa v60, v60, v131 dst_sel:DWORD dst_unused:UNUSED_PAD src0_sel:DWORD src1_sel:WORD_1
	v_sub_f16_e32 v15, v144, v92
	v_sub_f16_e32 v55, v147, v55
	v_sub_f16_e32 v87, v151, v149
	v_add_f16_e32 v88, v150, v152
	v_sub_f16_e32 v92, v83, v14
	v_sub_f16_e32 v14, v14, v85
	;; [unrolled: 1-line block ×3, first 2 shown]
	v_add_f16_e32 v85, v85, v91
	v_add_f16_e32 v91, v84, v62
	v_fma_f16 v60, v96, v131, v60
	v_sub_f16_e32 v59, v148, v59
	v_sub_f16_e32 v90, v152, v150
	;; [unrolled: 1-line block ×5, first 2 shown]
	v_add_f16_e32 v88, v88, v91
	v_add_f16_e32 v91, v87, v55
	v_sub_f16_e32 v73, v146, v73
	v_sub_f16_e32 v118, v87, v55
	;; [unrolled: 1-line block ×4, first 2 shown]
	v_add_f16_e32 v15, v91, v15
	v_add_f16_e32 v91, v90, v59
	v_sub_f16_e32 v119, v90, v59
	v_sub_f16_e32 v90, v73, v90
	;; [unrolled: 1-line block ×3, first 2 shown]
	v_add_f16_e32 v73, v91, v73
	v_mul_f16_e32 v14, 0x3a52, v14
	v_mul_f16_e32 v91, 0x2b26, v83
	v_fma_f16 v83, v83, s14, v14
	v_fma_f16 v91, v92, s4, -v91
	v_fma_f16 v14, v92, s5, -v14
	v_mul_f16_e32 v62, 0x3a52, v62
	v_mul_f16_e32 v92, 0x2b26, v84
	v_fma_f16 v84, v84, s14, v62
	v_fma_f16 v92, v96, s4, -v92
	v_fma_f16 v62, v96, s5, -v62
	v_mul_f16_e32 v96, 0xb846, v118
	v_mul_f16_e32 v118, 0x3b00, v55
	v_add_f16_e32 v36, v36, v85
	v_fma_f16 v55, v55, s1, -v96
	v_fma_f16 v96, v87, s11, v96
	v_fma_f16 v87, v87, s6, -v118
	v_mul_f16_e32 v118, 0xb846, v119
	v_mul_f16_e32 v119, 0x3b00, v59
	v_fma_f16 v85, v85, s10, v36
	v_fma_f16 v59, v59, s1, -v118
	v_fma_f16 v118, v90, s11, v118
	v_fma_f16 v90, v90, s6, -v119
	v_add_f16_e32 v119, v83, v85
	v_add_f16_e32 v83, v91, v85
	;; [unrolled: 1-line block ×3, first 2 shown]
	s_waitcnt lgkmcnt(0)
	v_add_f16_e32 v14, v82, v88
	v_fma_f16 v82, v88, s10, v14
	v_add_f16_e32 v84, v84, v82
	v_add_f16_e32 v88, v92, v82
	;; [unrolled: 1-line block ×3, first 2 shown]
	v_fma_f16 v91, v15, s0, v96
	v_fma_f16 v62, v15, s0, v55
	;; [unrolled: 1-line block ×6, first 2 shown]
	v_sub_f16_e32 v55, v83, v15
	v_add_f16_e32 v59, v15, v83
	v_add_f16_e32 v15, v62, v88
	v_sub_f16_e32 v73, v88, v62
	v_add_f16_e32 v87, v90, v85
	v_sub_f16_e32 v62, v85, v90
	v_sub_f16_e32 v83, v82, v92
	v_add_f16_e32 v82, v92, v82
	v_sub_f16_e32 v85, v84, v91
	v_add_f16_e32 v84, v91, v84
	v_add_f16_e32 v90, v153, v95
	v_sub_f16_e32 v91, v153, v95
	v_add_f16_e32 v92, v154, v106
	v_sub_f16_e32 v95, v154, v106
	v_add_f16_e32 v106, v155, v93
	v_add_f16_e32 v96, v118, v119
	v_sub_f16_e32 v88, v119, v118
	v_add_f16_e32 v118, v156, v94
	v_add_f16_e32 v119, v157, v159
	;; [unrolled: 1-line block ×3, first 2 shown]
	v_sub_f16_e32 v93, v155, v93
	v_sub_f16_e32 v130, v106, v90
	;; [unrolled: 1-line block ×4, first 2 shown]
	v_add_f16_e32 v119, v119, v123
	v_add_f16_e32 v123, v118, v92
	v_sub_f16_e32 v94, v156, v94
	v_sub_f16_e32 v131, v118, v92
	;; [unrolled: 1-line block ×4, first 2 shown]
	v_add_f16_e32 v121, v121, v123
	v_add_f16_e32 v123, v120, v93
	v_sub_f16_e32 v132, v120, v93
	v_sub_f16_e32 v120, v91, v120
	;; [unrolled: 1-line block ×3, first 2 shown]
	v_add_f16_e32 v91, v123, v91
	v_add_f16_e32 v123, v122, v94
	v_sub_f16_e32 v133, v122, v94
	v_sub_f16_e32 v122, v95, v122
	;; [unrolled: 1-line block ×3, first 2 shown]
	v_add_f16_e32 v95, v123, v95
	v_mul_f16_e32 v90, 0x3a52, v90
	v_mul_f16_e32 v123, 0x2b26, v106
	v_fma_f16 v106, v106, s14, v90
	v_fma_f16 v123, v130, s4, -v123
	v_fma_f16 v90, v130, s5, -v90
	v_mul_f16_e32 v92, 0x3a52, v92
	v_mul_f16_e32 v130, 0x2b26, v118
	v_fma_f16 v118, v118, s14, v92
	v_fma_f16 v130, v131, s4, -v130
	v_fma_f16 v92, v131, s5, -v92
	v_mul_f16_e32 v131, 0xb846, v132
	v_mul_f16_e32 v132, 0x3b00, v93
	v_add_f16_e32 v35, v35, v119
	v_fma_f16 v93, v93, s1, -v131
	v_fma_f16 v131, v120, s11, v131
	v_fma_f16 v120, v120, s6, -v132
	v_mul_f16_e32 v132, 0xb846, v133
	v_mul_f16_e32 v133, 0x3b00, v94
	v_fma_f16 v119, v119, s10, v35
	v_add_f16_e32 v89, v89, v121
	v_fma_f16 v94, v94, s1, -v132
	v_fma_f16 v132, v122, s11, v132
	v_fma_f16 v122, v122, s6, -v133
	v_add_f16_e32 v133, v90, v119
	v_fma_f16 v90, v121, s10, v89
	v_add_f16_e32 v106, v106, v119
	v_add_f16_e32 v123, v123, v119
	;; [unrolled: 1-line block ×5, first 2 shown]
	v_fma_f16 v132, v95, s0, v132
	v_fma_f16 v90, v95, s0, v94
	;; [unrolled: 1-line block ×3, first 2 shown]
	v_sub_f16_e32 v118, v123, v90
	v_add_f16_e32 v119, v90, v123
	v_add_f16_e32 v123, v132, v106
	v_sub_f16_e32 v122, v106, v132
	v_add_f16_e32 v106, v110, v126
	v_sub_f16_e32 v110, v110, v126
	;; [unrolled: 2-line block ×3, first 2 shown]
	v_add_f16_e32 v127, v108, v124
	v_fma_f16 v130, v91, s0, v131
	v_fma_f16 v93, v91, s0, v93
	v_sub_f16_e32 v108, v108, v124
	v_add_f16_e32 v124, v109, v125
	v_sub_f16_e32 v109, v109, v125
	v_add_f16_e32 v125, v105, v114
	;; [unrolled: 2-line block ×4, first 2 shown]
	v_fma_f16 v131, v91, s0, v120
	v_add_f16_e32 v90, v93, v121
	v_sub_f16_e32 v91, v121, v93
	v_add_f16_e32 v121, v94, v133
	v_sub_f16_e32 v120, v133, v94
	v_sub_f16_e32 v95, v134, v130
	v_add_f16_e32 v94, v130, v134
	v_sub_f16_e32 v130, v127, v106
	v_sub_f16_e32 v106, v106, v125
	;; [unrolled: 1-line block ×3, first 2 shown]
	v_add_f16_e32 v115, v125, v115
	v_add_f16_e32 v125, v124, v126
	v_sub_f16_e32 v93, v92, v131
	v_add_f16_e32 v92, v131, v92
	v_sub_f16_e32 v131, v124, v126
	v_sub_f16_e32 v126, v126, v114
	v_sub_f16_e32 v124, v114, v124
	v_add_f16_e32 v114, v114, v125
	v_add_f16_e32 v125, v105, v108
	v_sub_f16_e32 v132, v105, v108
	v_sub_f16_e32 v105, v110, v105
	v_sub_f16_e32 v108, v108, v110
	v_add_f16_e32 v110, v125, v110
	;; [unrolled: 5-line block ×3, first 2 shown]
	v_mul_f16_e32 v106, 0x3a52, v106
	v_mul_f16_e32 v125, 0x2b26, v127
	v_fma_f16 v127, v127, s14, v106
	v_fma_f16 v125, v130, s4, -v125
	v_fma_f16 v106, v130, s5, -v106
	v_mul_f16_e32 v126, 0x3a52, v126
	v_mul_f16_e32 v130, 0x2b26, v124
	v_fma_f16 v124, v124, s14, v126
	v_fma_f16 v130, v131, s4, -v130
	v_fma_f16 v126, v131, s5, -v126
	v_mul_f16_e32 v131, 0xb846, v132
	v_mul_f16_e32 v132, 0x3b00, v108
	v_add_f16_e32 v34, v34, v115
	v_fma_f16 v108, v108, s1, -v131
	v_fma_f16 v131, v105, s11, v131
	v_fma_f16 v105, v105, s6, -v132
	v_mul_f16_e32 v132, 0xb846, v133
	v_mul_f16_e32 v133, 0x3b00, v109
	v_fma_f16 v115, v115, s10, v34
	v_add_f16_e32 v98, v98, v114
	v_fma_f16 v109, v109, s1, -v132
	v_fma_f16 v132, v107, s11, v132
	v_fma_f16 v107, v107, s6, -v133
	v_add_f16_e32 v127, v127, v115
	v_add_f16_e32 v125, v125, v115
	;; [unrolled: 1-line block ×3, first 2 shown]
	v_fma_f16 v106, v114, s10, v98
	v_add_f16_e32 v114, v124, v106
	v_add_f16_e32 v124, v130, v106
	v_add_f16_e32 v126, v126, v106
	v_fma_f16 v130, v110, s0, v131
	v_fma_f16 v106, v110, s0, v108
	;; [unrolled: 1-line block ×6, first 2 shown]
	v_sub_f16_e32 v113, v125, v105
	v_add_f16_e32 v125, v105, v125
	v_add_f16_e32 v105, v106, v124
	v_sub_f16_e32 v106, v124, v106
	v_add_f16_e32 v124, v107, v115
	v_sub_f16_e32 v115, v115, v107
	v_sub_f16_e32 v108, v126, v110
	v_add_f16_e32 v107, v110, v126
	v_sub_f16_e32 v110, v114, v130
	v_add_f16_e32 v109, v130, v114
	v_add_f16_e32 v114, v99, v128
	v_sub_f16_e32 v99, v99, v128
	v_add_f16_e32 v128, v100, v129
	v_sub_f16_e32 v100, v100, v129
	;; [unrolled: 2-line block ×7, first 2 shown]
	v_sub_f16_e32 v114, v114, v104
	v_sub_f16_e32 v129, v104, v129
	v_add_f16_e32 v103, v104, v103
	v_add_f16_e32 v104, v101, v128
	;; [unrolled: 1-line block ×3, first 2 shown]
	v_sub_f16_e32 v127, v127, v131
	v_sub_f16_e32 v131, v101, v128
	v_sub_f16_e32 v128, v128, v102
	v_sub_f16_e32 v101, v102, v101
	v_add_f16_e32 v102, v102, v104
	v_add_f16_e32 v104, v72, v86
	v_sub_f16_e32 v132, v72, v86
	v_sub_f16_e32 v72, v99, v72
	;; [unrolled: 1-line block ×3, first 2 shown]
	v_add_f16_e32 v99, v104, v99
	v_add_f16_e32 v104, v81, v97
	v_sub_f16_e32 v133, v81, v97
	v_sub_f16_e32 v81, v100, v81
	;; [unrolled: 1-line block ×3, first 2 shown]
	v_add_f16_e32 v100, v104, v100
	v_mul_f16_e32 v104, 0x3a52, v114
	v_mul_f16_e32 v114, 0x2b26, v129
	v_fma_f16 v129, v129, s14, v104
	v_fma_f16 v114, v130, s4, -v114
	v_fma_f16 v104, v130, s5, -v104
	v_mul_f16_e32 v128, 0x3a52, v128
	v_mul_f16_e32 v130, 0x2b26, v101
	v_add_f16_e32 v33, v33, v103
	v_fma_f16 v101, v101, s14, v128
	v_fma_f16 v130, v131, s4, -v130
	v_fma_f16 v128, v131, s5, -v128
	v_mul_f16_e32 v131, 0xb846, v132
	v_mul_f16_e32 v132, 0x3b00, v86
	v_fma_f16 v103, v103, s10, v33
	v_fma_f16 v86, v86, s1, -v131
	v_fma_f16 v131, v72, s11, v131
	v_fma_f16 v72, v72, s6, -v132
	v_mul_f16_e32 v132, 0xb846, v133
	v_mul_f16_e32 v133, 0x3b00, v97
	v_add_f16_e32 v129, v129, v103
	v_add_f16_e32 v114, v114, v103
	;; [unrolled: 1-line block ×4, first 2 shown]
	v_fma_f16 v97, v97, s1, -v132
	v_fma_f16 v132, v81, s11, v132
	v_fma_f16 v81, v81, s6, -v133
	v_fma_f16 v54, v102, s10, v104
	v_add_f16_e32 v101, v101, v54
	v_add_f16_e32 v102, v130, v54
	;; [unrolled: 1-line block ×3, first 2 shown]
	v_fma_f16 v128, v99, s0, v131
	v_fma_f16 v86, v99, s0, v86
	;; [unrolled: 1-line block ×6, first 2 shown]
	v_sub_f16_e32 v100, v114, v97
	v_add_f16_e32 v97, v97, v114
	v_add_f16_e32 v114, v86, v102
	v_sub_f16_e32 v102, v102, v86
	v_add_f16_e32 v86, v81, v103
	v_sub_f16_e32 v81, v103, v81
	v_sub_f16_e32 v103, v54, v72
	v_add_f16_e32 v130, v72, v54
	v_add_f16_e32 v54, v99, v129
	v_sub_f16_e32 v72, v129, v99
	v_sub_f16_e32 v99, v101, v128
	v_add_f16_e32 v101, v128, v101
	v_add_f16_e32 v128, v68, v116
	v_sub_f16_e32 v68, v68, v116
	v_add_f16_e32 v116, v69, v117
	v_sub_f16_e32 v69, v69, v117
	;; [unrolled: 2-line block ×7, first 2 shown]
	v_sub_f16_e32 v128, v128, v112
	v_sub_f16_e32 v117, v112, v117
	v_add_f16_e32 v71, v112, v71
	v_add_f16_e32 v112, v111, v116
	v_sub_f16_e32 v131, v111, v116
	v_sub_f16_e32 v116, v116, v70
	v_sub_f16_e32 v111, v70, v111
	v_add_f16_e32 v70, v70, v112
	v_add_f16_e32 v112, v64, v66
	v_sub_f16_e32 v132, v64, v66
	;; [unrolled: 5-line block ×3, first 2 shown]
	v_sub_f16_e32 v65, v69, v65
	v_sub_f16_e32 v67, v67, v69
	v_add_f16_e32 v69, v112, v69
	v_mul_f16_e32 v112, 0x3a52, v128
	v_mul_f16_e32 v128, 0x2b26, v117
	v_fma_f16 v117, v117, s14, v112
	v_fma_f16 v128, v129, s4, -v128
	v_fma_f16 v112, v129, s5, -v112
	v_mul_f16_e32 v116, 0x3a52, v116
	v_mul_f16_e32 v129, 0x2b26, v111
	v_add_f16_e32 v26, v26, v71
	v_fma_f16 v111, v111, s14, v116
	v_fma_f16 v129, v131, s4, -v129
	v_fma_f16 v116, v131, s5, -v116
	v_mul_f16_e32 v131, 0xb846, v132
	v_mul_f16_e32 v132, 0x3b00, v66
	v_fma_f16 v71, v71, s10, v26
	v_fma_f16 v66, v66, s1, -v131
	v_fma_f16 v131, v64, s11, v131
	v_fma_f16 v64, v64, s6, -v132
	v_mul_f16_e32 v132, 0xb846, v133
	v_add_f16_e32 v117, v117, v71
	v_add_f16_e32 v128, v128, v71
	;; [unrolled: 1-line block ×4, first 2 shown]
	v_mul_f16_e32 v133, 0x3b00, v67
	v_fma_f16 v67, v67, s1, -v132
	v_fma_f16 v132, v65, s11, v132
	v_fma_f16 v43, v70, s10, v112
	v_add_f16_e32 v70, v111, v43
	v_add_f16_e32 v111, v129, v43
	;; [unrolled: 1-line block ×3, first 2 shown]
	v_fma_f16 v116, v68, s0, v131
	v_fma_f16 v66, v68, s0, v66
	;; [unrolled: 1-line block ×4, first 2 shown]
	v_sub_f16_e32 v129, v43, v64
	v_add_f16_e32 v131, v64, v43
	v_add_f16_e32 v43, v68, v117
	v_sub_f16_e32 v64, v117, v68
	v_add_f16_e32 v68, v58, v49
	v_sub_f16_e32 v49, v58, v49
	;; [unrolled: 2-line block ×3, first 2 shown]
	v_add_f16_e32 v63, v56, v45
	v_fma_f16 v65, v65, s6, -v133
	v_sub_f16_e32 v45, v56, v45
	v_add_f16_e32 v56, v57, v46
	v_sub_f16_e32 v46, v57, v46
	v_add_f16_e32 v57, v10, v61
	;; [unrolled: 2-line block ×4, first 2 shown]
	v_fma_f16 v67, v69, s0, v67
	v_fma_f16 v65, v69, s0, v65
	v_sub_f16_e32 v117, v70, v116
	v_add_f16_e32 v116, v116, v70
	v_sub_f16_e32 v70, v63, v68
	v_sub_f16_e32 v68, v68, v57
	;; [unrolled: 1-line block ×3, first 2 shown]
	v_add_f16_e32 v57, v57, v60
	v_add_f16_e32 v60, v56, v58
	v_sub_f16_e32 v69, v128, v67
	v_add_f16_e32 v67, v67, v128
	v_add_f16_e32 v128, v66, v111
	v_sub_f16_e32 v111, v111, v66
	v_add_f16_e32 v66, v65, v71
	v_sub_f16_e32 v65, v71, v65
	v_sub_f16_e32 v71, v56, v58
	;; [unrolled: 1-line block ×4, first 2 shown]
	v_add_f16_e32 v60, v61, v60
	v_add_f16_e32 v61, v10, v45
	v_sub_f16_e32 v132, v10, v45
	v_sub_f16_e32 v10, v49, v10
	;; [unrolled: 1-line block ×3, first 2 shown]
	v_add_f16_e32 v49, v61, v49
	v_add_f16_e32 v61, v11, v46
	v_sub_f16_e32 v133, v11, v46
	v_sub_f16_e32 v11, v53, v11
	;; [unrolled: 1-line block ×3, first 2 shown]
	v_add_f16_e32 v53, v61, v53
	v_mul_f16_e32 v61, 0x3a52, v68
	v_mul_f16_e32 v68, 0x2b26, v63
	v_fma_f16 v63, v63, s14, v61
	v_fma_f16 v68, v70, s4, -v68
	v_fma_f16 v61, v70, s5, -v61
	v_mul_f16_e32 v58, 0x3a52, v58
	v_mul_f16_e32 v70, 0x2b26, v56
	v_fma_f16 v56, v56, s14, v58
	v_fma_f16 v70, v71, s4, -v70
	v_fma_f16 v58, v71, s5, -v58
	v_mul_f16_e32 v71, 0xb846, v132
	v_mul_f16_e32 v132, 0x3b00, v45
	v_fma_f16 v45, v45, s1, -v71
	v_fma_f16 v71, v10, s11, v71
	v_fma_f16 v10, v10, s6, -v132
	v_mul_f16_e32 v132, 0xb846, v133
	v_mul_f16_e32 v133, 0x3b00, v46
	v_fma_f16 v46, v46, s1, -v132
	v_fma_f16 v132, v11, s11, v132
	v_fma_f16 v11, v11, s6, -v133
	ds_read_u16 v133, v24
	v_add_f16_e32 v25, v25, v57
	v_fma_f16 v57, v57, s10, v25
	v_add_f16_e32 v63, v63, v57
	v_add_f16_e32 v68, v68, v57
	s_waitcnt lgkmcnt(0)
	v_add_f16_e32 v133, v133, v60
	v_fma_f16 v60, v60, s10, v133
	v_add_f16_e32 v57, v61, v57
	v_add_f16_e32 v56, v56, v60
	;; [unrolled: 1-line block ×4, first 2 shown]
	v_fma_f16 v60, v49, s0, v71
	v_sub_f16_e32 v136, v56, v60
	v_add_f16_e32 v137, v60, v56
	v_mov_b32_e32 v56, 1
	v_lshlrev_b32_sdwa v28, v56, v28 dst_sel:DWORD dst_unused:UNUSED_PAD src0_sel:DWORD src1_sel:BYTE_0
	v_add3_u32 v27, 0, v27, v28
	v_mul_u32_u24_e32 v28, 0x62, v29
	v_lshlrev_b32_sdwa v29, v56, v30 dst_sel:DWORD dst_unused:UNUSED_PAD src0_sel:DWORD src1_sel:BYTE_0
	v_add3_u32 v29, 0, v28, v29
	v_mul_u32_u24_e32 v28, 0x62, v31
	v_lshlrev_b32_sdwa v30, v56, v32 dst_sel:DWORD dst_unused:UNUSED_PAD src0_sel:DWORD src1_sel:BYTE_0
	s_waitcnt lgkmcnt(0)
	; wave barrier
	ds_write_b16 v27, v37
	ds_write_b16 v27, v44 offset:14
	ds_write_b16 v27, v41 offset:28
	;; [unrolled: 1-line block ×6, first 2 shown]
	ds_write_b16 v29, v36
	ds_write_b16 v29, v96 offset:14
	ds_write_b16 v29, v87 offset:28
	;; [unrolled: 1-line block ×6, first 2 shown]
	v_add3_u32 v96, 0, v28, v30
	v_mul_u32_u24_e32 v28, 0x62, v47
	v_lshlrev_b32_sdwa v30, v56, v48 dst_sel:DWORD dst_unused:UNUSED_PAD src0_sel:DWORD src1_sel:BYTE_0
	ds_write_b16 v96, v35
	ds_write_b16 v96, v123 offset:14
	ds_write_b16 v96, v121 offset:28
	;; [unrolled: 1-line block ×6, first 2 shown]
	v_add3_u32 v118, 0, v28, v30
	v_lshlrev_b32_sdwa v28, v56, v50 dst_sel:DWORD dst_unused:UNUSED_PAD src0_sel:DWORD src1_sel:BYTE_0
	v_add3_u32 v6, 0, v6, v28
	v_lshlrev_b32_e32 v28, 1, v51
	v_add3_u32 v7, 0, v7, v28
	v_fma_f16 v45, v49, s0, v45
	v_fma_f16 v10, v49, s0, v10
	;; [unrolled: 1-line block ×5, first 2 shown]
	ds_write_b16 v118, v34
	ds_write_b16 v118, v126 offset:14
	ds_write_b16 v118, v124 offset:28
	ds_write_b16 v118, v113 offset:42
	ds_write_b16 v118, v125 offset:56
	ds_write_b16 v118, v115 offset:70
	ds_write_b16 v118, v127 offset:84
	ds_write_b16 v6, v33
	ds_write_b16 v6, v54 offset:14
	ds_write_b16 v6, v86 offset:28
	ds_write_b16 v6, v100 offset:42
	ds_write_b16 v6, v97 offset:56
	ds_write_b16 v6, v81 offset:70
	ds_write_b16 v6, v72 offset:84
	;; [unrolled: 7-line block ×3, first 2 shown]
	v_lshlrev_b32_e32 v26, 1, v52
	v_sub_f16_e32 v53, v68, v46
	v_add_f16_e32 v46, v46, v68
	v_add_f16_e32 v132, v45, v61
	v_sub_f16_e32 v134, v61, v45
	v_add_f16_e32 v45, v11, v57
	v_sub_f16_e32 v11, v57, v11
	;; [unrolled: 2-line block ×3, first 2 shown]
	v_add3_u32 v0, 0, v0, v26
	v_sub_f16_e32 v135, v58, v10
	v_add_f16_e32 v10, v10, v58
	ds_write_b16 v0, v25
	ds_write_b16 v0, v57 offset:14
	ds_write_b16 v0, v45 offset:28
	;; [unrolled: 1-line block ×6, first 2 shown]
	s_waitcnt lgkmcnt(0)
	; wave barrier
	s_waitcnt lgkmcnt(0)
	ds_read_u16 v39, v17 offset:3626
	ds_read_u16 v38, v17 offset:4312
	;; [unrolled: 1-line block ×3, first 2 shown]
	ds_read_u16 v31, v21
	ds_read_u16 v30, v22
	ds_read_u16 v28, v23
	ds_read_u16 v33, v17 offset:1372
	ds_read_u16 v70, v17 offset:1470
	ds_read_u16 v68, v17 offset:1568
	ds_read_u16 v62, v17 offset:1666
	ds_read_u16 v58, v17 offset:1764
	ds_read_u16 v51, v17 offset:1862
	ds_read_u16 v71, v17 offset:2156
	ds_read_u16 v69, v17 offset:2254
	ds_read_u16 v63, v17 offset:2352
	ds_read_u16 v59, v17 offset:2450
	ds_read_u16 v52, v17 offset:2548
	ds_read_u16 v66, v17 offset:2940
	ds_read_u16 v64, v17 offset:3038
	ds_read_u16 v60, v17 offset:3136
	ds_read_u16 v53, v17 offset:3234
	ds_read_u16 v46, v17 offset:3724
	ds_read_u16 v43, v17 offset:3822
	ds_read_u16 v41, v17 offset:3920
	ds_read_u16 v42, v17 offset:4508
	ds_read_u16 v40, v17 offset:4606
	ds_read_u16 v26, v24
	ds_read_u16 v36, v17
	ds_read_u16 v88, v17 offset:686
	ds_read_u16 v34, v17 offset:784
	ds_read_u16 v72, v17 offset:882
	ds_read_u16 v67, v17 offset:980
	ds_read_u16 v65, v17 offset:1078
	ds_read_u16 v61, v17 offset:1176
	ds_read_u16 v50, v17 offset:1274
	ds_read_u16 v87, v17 offset:2058
	ds_read_u16 v49, v17 offset:1960
	ds_read_u16 v81, v17 offset:2842
	ds_read_u16 v86, v17 offset:2744
	ds_read_u16 v48, v17 offset:2646
	ds_read_u16 v55, v17 offset:3528
	ds_read_u16 v57, v17 offset:3430
	ds_read_u16 v47, v17 offset:3332
	ds_read_u16 v54, v17 offset:4214
	ds_read_u16 v56, v17 offset:4116
	ds_read_u16 v45, v17 offset:4018
	ds_read_u16 v32, v20
	ds_read_u16 v35, v19
	ds_read_u16 v44, v17 offset:4704
	s_waitcnt lgkmcnt(0)
	; wave barrier
	s_waitcnt lgkmcnt(0)
	ds_write_b16 v27, v1
	ds_write_b16 v27, v9 offset:14
	ds_write_b16 v27, v5 offset:28
	ds_write_b16 v27, v2 offset:42
	ds_write_b16 v27, v3 offset:56
	ds_write_b16 v27, v4 offset:70
	ds_write_b16 v27, v8 offset:84
	ds_write_b16 v29, v14
	ds_write_b16 v29, v85 offset:14
	ds_write_b16 v29, v83 offset:28
	ds_write_b16 v29, v15 offset:42
	ds_write_b16 v29, v73 offset:56
	ds_write_b16 v29, v82 offset:70
	ds_write_b16 v29, v84 offset:84
	;; [unrolled: 7-line block ×7, first 2 shown]
	v_mul_u32_u24_e32 v0, 6, v74
	v_lshlrev_b32_e32 v25, 2, v0
	s_waitcnt lgkmcnt(0)
	; wave barrier
	s_waitcnt lgkmcnt(0)
	global_load_dwordx4 v[0:3], v25, s[8:9] offset:168
	v_mul_lo_u16_sdwa v4, v76, s15 dst_sel:DWORD dst_unused:UNUSED_PAD src0_sel:BYTE_0 src1_sel:DWORD
	v_sub_u16_sdwa v5, v76, v4 dst_sel:DWORD dst_unused:UNUSED_PAD src0_sel:DWORD src1_sel:BYTE_1
	v_lshrrev_b16_e32 v5, 1, v5
	v_and_b32_e32 v5, 0x7f, v5
	v_add_u16_sdwa v4, v5, v4 dst_sel:DWORD dst_unused:UNUSED_PAD src0_sel:DWORD src1_sel:BYTE_1
	v_lshrrev_b16_e32 v4, 5, v4
	v_mul_lo_u16_e32 v4, 49, v4
	v_sub_u16_e32 v4, v76, v4
	v_and_b32_e32 v27, 0xff, v4
	v_mul_u32_u24_e32 v4, 6, v27
	v_lshlrev_b32_e32 v102, 2, v4
	ds_read_u16 v73, v17 offset:3626
	ds_read_u16 v99, v17 offset:1372
	;; [unrolled: 1-line block ×7, first 2 shown]
	global_load_dwordx4 v[4:7], v102, s[8:9] offset:168
	v_mul_lo_u16_sdwa v8, v77, s15 dst_sel:DWORD dst_unused:UNUSED_PAD src0_sel:BYTE_0 src1_sel:DWORD
	v_sub_u16_sdwa v9, v77, v8 dst_sel:DWORD dst_unused:UNUSED_PAD src0_sel:DWORD src1_sel:BYTE_1
	v_lshrrev_b16_e32 v9, 1, v9
	v_and_b32_e32 v9, 0x7f, v9
	v_add_u16_sdwa v8, v9, v8 dst_sel:DWORD dst_unused:UNUSED_PAD src0_sel:DWORD src1_sel:BYTE_1
	v_lshrrev_b16_e32 v8, 5, v8
	v_mul_lo_u16_e32 v8, 49, v8
	ds_read_u16 v105, v17 offset:2156
	ds_read_u16 v101, v17 offset:2254
	ds_read_u16 v97, v17 offset:2352
	ds_read_u16 v92, v17 offset:2450
	ds_read_u16 v90, v17 offset:2548
	ds_read_u16 v112, v17 offset:686
	ds_read_u16 v108, v17 offset:784
	ds_read_u16 v106, v17 offset:882
	ds_read_u16 v100, v17 offset:980
	ds_read_u16 v98, v17 offset:1078
	ds_read_u16 v93, v17 offset:1176
	ds_read_u16 v85, v17 offset:1274
	v_sub_u16_e32 v8, v77, v8
	v_and_b32_e32 v29, 0xff, v8
	v_mul_u32_u24_e32 v8, 6, v29
	v_lshlrev_b32_e32 v109, 2, v8
	global_load_dwordx4 v[8:11], v109, s[8:9] offset:168
	ds_read_u16 v113, v17 offset:2058
	ds_read_u16 v94, v17 offset:1960
	;; [unrolled: 1-line block ×10, first 2 shown]
	global_load_dwordx2 v[14:15], v25, s[8:9] offset:184
	ds_read_u16 v126, v17
	s_waitcnt vmcnt(3) lgkmcnt(14)
	v_mul_f16_sdwa v115, v112, v0 dst_sel:DWORD dst_unused:UNUSED_PAD src0_sel:DWORD src1_sel:WORD_1
	v_fma_f16 v127, v88, v0, -v115
	v_mul_f16_sdwa v88, v88, v0 dst_sel:DWORD dst_unused:UNUSED_PAD src0_sel:DWORD src1_sel:WORD_1
	v_fma_f16 v88, v112, v0, v88
	v_mul_f16_sdwa v112, v99, v1 dst_sel:DWORD dst_unused:UNUSED_PAD src0_sel:DWORD src1_sel:WORD_1
	v_fma_f16 v128, v33, v1, -v112
	v_mul_f16_sdwa v33, v33, v1 dst_sel:DWORD dst_unused:UNUSED_PAD src0_sel:DWORD src1_sel:WORD_1
	v_fma_f16 v129, v99, v1, v33
	s_waitcnt lgkmcnt(10)
	v_mul_f16_sdwa v33, v113, v2 dst_sel:DWORD dst_unused:UNUSED_PAD src0_sel:DWORD src1_sel:WORD_1
	v_fma_f16 v130, v87, v2, -v33
	v_mul_lo_u16_sdwa v33, v78, s15 dst_sel:DWORD dst_unused:UNUSED_PAD src0_sel:BYTE_0 src1_sel:DWORD
	v_sub_u16_sdwa v99, v78, v33 dst_sel:DWORD dst_unused:UNUSED_PAD src0_sel:DWORD src1_sel:BYTE_1
	v_lshrrev_b16_e32 v99, 1, v99
	v_and_b32_e32 v99, 0x7f, v99
	v_add_u16_sdwa v33, v99, v33 dst_sel:DWORD dst_unused:UNUSED_PAD src0_sel:DWORD src1_sel:BYTE_1
	v_lshrrev_b16_e32 v33, 5, v33
	v_mul_lo_u16_e32 v33, 49, v33
	v_sub_u16_e32 v33, v78, v33
	v_and_b32_e32 v33, 0xff, v33
	s_waitcnt lgkmcnt(7)
	v_mul_f16_sdwa v112, v114, v3 dst_sel:DWORD dst_unused:UNUSED_PAD src0_sel:DWORD src1_sel:WORD_1
	v_mul_u32_u24_e32 v99, 6, v33
	v_fma_f16 v131, v86, v3, -v112
	v_mul_f16_sdwa v112, v108, v0 dst_sel:DWORD dst_unused:UNUSED_PAD src0_sel:DWORD src1_sel:WORD_1
	s_movk_i32 s15, 0x4e5f
	v_lshlrev_b32_e32 v99, 2, v99
	global_load_dwordx4 v[122:125], v99, s[8:9] offset:168
	v_fma_f16 v132, v34, v0, -v112
	v_mul_f16_sdwa v116, v34, v0 dst_sel:DWORD dst_unused:UNUSED_PAD src0_sel:DWORD src1_sel:WORD_1
	v_mul_u32_u24_sdwa v34, v79, s15 dst_sel:DWORD dst_unused:UNUSED_PAD src0_sel:WORD_0 src1_sel:DWORD
	v_sub_u16_sdwa v112, v79, v34 dst_sel:DWORD dst_unused:UNUSED_PAD src0_sel:DWORD src1_sel:WORD_1
	v_lshrrev_b16_e32 v112, 1, v112
	v_add_u16_sdwa v34, v112, v34 dst_sel:DWORD dst_unused:UNUSED_PAD src0_sel:DWORD src1_sel:WORD_1
	v_lshrrev_b16_e32 v34, 5, v34
	v_mul_lo_u16_e32 v34, 49, v34
	v_sub_u16_e32 v34, v79, v34
	v_mul_u32_u24_e32 v112, 6, v34
	v_mul_f16_sdwa v87, v87, v2 dst_sel:DWORD dst_unused:UNUSED_PAD src0_sel:DWORD src1_sel:WORD_1
	v_mul_f16_sdwa v86, v86, v3 dst_sel:DWORD dst_unused:UNUSED_PAD src0_sel:DWORD src1_sel:WORD_1
	v_lshlrev_b32_e32 v133, 2, v112
	v_fma_f16 v87, v113, v2, v87
	v_fma_f16 v86, v114, v3, v86
	global_load_dwordx4 v[112:115], v133, s[8:9] offset:168
	v_fma_f16 v108, v108, v0, v116
	v_mul_f16_sdwa v0, v91, v1 dst_sel:DWORD dst_unused:UNUSED_PAD src0_sel:DWORD src1_sel:WORD_1
	v_fma_f16 v134, v70, v1, -v0
	v_mul_f16_sdwa v0, v70, v1 dst_sel:DWORD dst_unused:UNUSED_PAD src0_sel:DWORD src1_sel:WORD_1
	v_fma_f16 v135, v91, v1, v0
	v_mul_f16_sdwa v0, v105, v2 dst_sel:DWORD dst_unused:UNUSED_PAD src0_sel:DWORD src1_sel:WORD_1
	v_fma_f16 v136, v71, v2, -v0
	v_mul_f16_sdwa v0, v71, v2 dst_sel:DWORD dst_unused:UNUSED_PAD src0_sel:DWORD src1_sel:WORD_1
	global_load_dwordx2 v[70:71], v102, s[8:9] offset:184
	v_fma_f16 v137, v105, v2, v0
	v_mul_f16_sdwa v0, v111, v3 dst_sel:DWORD dst_unused:UNUSED_PAD src0_sel:DWORD src1_sel:WORD_1
	v_fma_f16 v138, v81, v3, -v0
	v_mul_f16_sdwa v0, v81, v3 dst_sel:DWORD dst_unused:UNUSED_PAD src0_sel:DWORD src1_sel:WORD_1
	v_fma_f16 v81, v111, v3, v0
	s_waitcnt vmcnt(5)
	v_mul_f16_sdwa v0, v106, v4 dst_sel:DWORD dst_unused:UNUSED_PAD src0_sel:DWORD src1_sel:WORD_1
	v_fma_f16 v111, v72, v4, -v0
	v_mul_f16_sdwa v0, v72, v4 dst_sel:DWORD dst_unused:UNUSED_PAD src0_sel:DWORD src1_sel:WORD_1
	v_fma_f16 v139, v106, v4, v0
	v_mul_f16_sdwa v0, v89, v5 dst_sel:DWORD dst_unused:UNUSED_PAD src0_sel:DWORD src1_sel:WORD_1
	v_fma_f16 v140, v68, v5, -v0
	v_mul_f16_sdwa v0, v68, v5 dst_sel:DWORD dst_unused:UNUSED_PAD src0_sel:DWORD src1_sel:WORD_1
	v_fma_f16 v89, v89, v5, v0
	;; [unrolled: 4-line block ×3, first 2 shown]
	v_mul_u32_u24_sdwa v0, v80, s15 dst_sel:DWORD dst_unused:UNUSED_PAD src0_sel:WORD_0 src1_sel:DWORD
	v_sub_u16_sdwa v2, v80, v0 dst_sel:DWORD dst_unused:UNUSED_PAD src0_sel:DWORD src1_sel:WORD_1
	v_lshrrev_b16_e32 v2, 1, v2
	v_add_u16_sdwa v0, v2, v0 dst_sel:DWORD dst_unused:UNUSED_PAD src0_sel:DWORD src1_sel:WORD_1
	v_lshrrev_b16_e32 v0, 5, v0
	v_mul_lo_u16_e32 v0, 49, v0
	v_sub_u16_e32 v0, v80, v0
	v_mul_u32_u24_e32 v2, 6, v0
	v_lshlrev_b32_e32 v69, 2, v2
	ds_read_u16 v1, v17 offset:3528
	ds_read_u16 v68, v17 offset:3430
	global_load_dwordx4 v[2:5], v69, s[8:9] offset:168
	s_waitcnt lgkmcnt(7)
	v_mul_f16_sdwa v6, v110, v7 dst_sel:DWORD dst_unused:UNUSED_PAD src0_sel:DWORD src1_sel:WORD_1
	v_fma_f16 v143, v66, v7, -v6
	v_mul_f16_sdwa v6, v66, v7 dst_sel:DWORD dst_unused:UNUSED_PAD src0_sel:DWORD src1_sel:WORD_1
	s_waitcnt vmcnt(5)
	v_mul_f16_sdwa v66, v100, v8 dst_sel:DWORD dst_unused:UNUSED_PAD src0_sel:DWORD src1_sel:WORD_1
	v_fma_f16 v106, v67, v8, -v66
	v_mul_f16_sdwa v66, v67, v8 dst_sel:DWORD dst_unused:UNUSED_PAD src0_sel:DWORD src1_sel:WORD_1
	v_fma_f16 v117, v100, v8, v66
	v_mul_f16_sdwa v8, v84, v9 dst_sel:DWORD dst_unused:UNUSED_PAD src0_sel:DWORD src1_sel:WORD_1
	v_fma_f16 v110, v110, v7, v6
	global_load_dwordx2 v[6:7], v109, s[8:9] offset:184
	v_fma_f16 v109, v62, v9, -v8
	v_mul_f16_sdwa v8, v62, v9 dst_sel:DWORD dst_unused:UNUSED_PAD src0_sel:DWORD src1_sel:WORD_1
	v_fma_f16 v118, v84, v9, v8
	v_mul_f16_sdwa v8, v97, v10 dst_sel:DWORD dst_unused:UNUSED_PAD src0_sel:DWORD src1_sel:WORD_1
	v_fma_f16 v116, v63, v10, -v8
	v_mul_f16_sdwa v8, v63, v10 dst_sel:DWORD dst_unused:UNUSED_PAD src0_sel:DWORD src1_sel:WORD_1
	v_fma_f16 v119, v97, v10, v8
	s_waitcnt lgkmcnt(6)
	v_mul_f16_sdwa v8, v107, v11 dst_sel:DWORD dst_unused:UNUSED_PAD src0_sel:DWORD src1_sel:WORD_1
	v_fma_f16 v120, v64, v11, -v8
	v_mul_f16_sdwa v8, v64, v11 dst_sel:DWORD dst_unused:UNUSED_PAD src0_sel:DWORD src1_sel:WORD_1
	v_fma_f16 v121, v107, v11, v8
	global_load_dwordx2 v[8:9], v99, s[8:9] offset:184
	s_waitcnt vmcnt(6) lgkmcnt(0)
	v_mul_f16_sdwa v67, v68, v14 dst_sel:DWORD dst_unused:UNUSED_PAD src0_sel:DWORD src1_sel:WORD_1
	v_fma_f16 v84, v57, v14, -v67
	v_mul_f16_sdwa v57, v57, v14 dst_sel:DWORD dst_unused:UNUSED_PAD src0_sel:DWORD src1_sel:WORD_1
	v_fma_f16 v57, v68, v14, v57
	s_waitcnt vmcnt(5)
	v_mul_f16_sdwa v10, v98, v122 dst_sel:DWORD dst_unused:UNUSED_PAD src0_sel:DWORD src1_sel:WORD_1
	v_fma_f16 v99, v65, v122, -v10
	v_mul_f16_sdwa v10, v65, v122 dst_sel:DWORD dst_unused:UNUSED_PAD src0_sel:DWORD src1_sel:WORD_1
	v_fma_f16 v100, v98, v122, v10
	v_mul_f16_sdwa v10, v83, v123 dst_sel:DWORD dst_unused:UNUSED_PAD src0_sel:DWORD src1_sel:WORD_1
	v_fma_f16 v97, v58, v123, -v10
	v_mul_f16_sdwa v10, v58, v123 dst_sel:DWORD dst_unused:UNUSED_PAD src0_sel:DWORD src1_sel:WORD_1
	v_fma_f16 v98, v83, v123, v10
	v_mul_f16_sdwa v10, v92, v124 dst_sel:DWORD dst_unused:UNUSED_PAD src0_sel:DWORD src1_sel:WORD_1
	v_fma_f16 v91, v59, v124, -v10
	v_mul_f16_sdwa v10, v59, v124 dst_sel:DWORD dst_unused:UNUSED_PAD src0_sel:DWORD src1_sel:WORD_1
	v_fma_f16 v92, v92, v124, v10
	v_mul_f16_sdwa v10, v104, v125 dst_sel:DWORD dst_unused:UNUSED_PAD src0_sel:DWORD src1_sel:WORD_1
	v_fma_f16 v101, v60, v125, -v10
	v_mul_f16_sdwa v10, v60, v125 dst_sel:DWORD dst_unused:UNUSED_PAD src0_sel:DWORD src1_sel:WORD_1
	v_fma_f16 v102, v104, v125, v10
	ds_read_u16 v10, v17 offset:4312
	ds_read_u16 v66, v17 offset:4410
	global_load_dwordx2 v[64:65], v133, s[8:9] offset:184
	s_waitcnt vmcnt(5)
	v_mul_f16_sdwa v11, v93, v112 dst_sel:DWORD dst_unused:UNUSED_PAD src0_sel:DWORD src1_sel:WORD_1
	v_fma_f16 v62, v61, v112, -v11
	v_mul_f16_sdwa v11, v61, v112 dst_sel:DWORD dst_unused:UNUSED_PAD src0_sel:DWORD src1_sel:WORD_1
	v_fma_f16 v61, v93, v112, v11
	v_mul_f16_sdwa v11, v82, v113 dst_sel:DWORD dst_unused:UNUSED_PAD src0_sel:DWORD src1_sel:WORD_1
	v_fma_f16 v59, v51, v113, -v11
	v_mul_f16_sdwa v11, v51, v113 dst_sel:DWORD dst_unused:UNUSED_PAD src0_sel:DWORD src1_sel:WORD_1
	v_fma_f16 v60, v82, v113, v11
	global_load_dwordx2 v[82:83], v69, s[8:9] offset:184
	v_mul_f16_sdwa v11, v90, v114 dst_sel:DWORD dst_unused:UNUSED_PAD src0_sel:DWORD src1_sel:WORD_1
	v_fma_f16 v58, v52, v114, -v11
	v_mul_f16_sdwa v11, v52, v114 dst_sel:DWORD dst_unused:UNUSED_PAD src0_sel:DWORD src1_sel:WORD_1
	v_fma_f16 v52, v90, v114, v11
	v_mul_f16_sdwa v11, v103, v115 dst_sel:DWORD dst_unused:UNUSED_PAD src0_sel:DWORD src1_sel:WORD_1
	v_fma_f16 v63, v53, v115, -v11
	v_mul_f16_sdwa v11, v53, v115 dst_sel:DWORD dst_unused:UNUSED_PAD src0_sel:DWORD src1_sel:WORD_1
	v_fma_f16 v53, v103, v115, v11
	ds_read_u16 v11, v17 offset:4214
	ds_read_u16 v51, v17 offset:4116
	;; [unrolled: 1-line block ×3, first 2 shown]
	v_lshl_add_u32 v0, v0, 1, 0
	s_waitcnt lgkmcnt(1)
	v_mul_f16_sdwa v67, v51, v15 dst_sel:DWORD dst_unused:UNUSED_PAD src0_sel:DWORD src1_sel:WORD_1
	v_fma_f16 v90, v56, v15, -v67
	v_mul_f16_sdwa v56, v56, v15 dst_sel:DWORD dst_unused:UNUSED_PAD src0_sel:DWORD src1_sel:WORD_1
	v_fma_f16 v56, v51, v15, v56
	v_mul_f16_sdwa v51, v1, v14 dst_sel:DWORD dst_unused:UNUSED_PAD src0_sel:DWORD src1_sel:WORD_1
	v_fma_f16 v93, v55, v14, -v51
	v_mul_f16_sdwa v51, v55, v14 dst_sel:DWORD dst_unused:UNUSED_PAD src0_sel:DWORD src1_sel:WORD_1
	v_fma_f16 v55, v1, v14, v51
	;; [unrolled: 4-line block ×3, first 2 shown]
	ds_read_u16 v1, v17 offset:3724
	ds_read_u16 v67, v17 offset:3822
	;; [unrolled: 1-line block ×3, first 2 shown]
	s_waitcnt vmcnt(4)
	v_mul_f16_sdwa v11, v85, v2 dst_sel:DWORD dst_unused:UNUSED_PAD src0_sel:DWORD src1_sel:WORD_1
	v_fma_f16 v51, v50, v2, -v11
	v_mul_f16_sdwa v11, v50, v2 dst_sel:DWORD dst_unused:UNUSED_PAD src0_sel:DWORD src1_sel:WORD_1
	v_fma_f16 v50, v85, v2, v11
	v_mul_f16_sdwa v2, v94, v3 dst_sel:DWORD dst_unused:UNUSED_PAD src0_sel:DWORD src1_sel:WORD_1
	v_fma_f16 v15, v49, v3, -v2
	v_mul_f16_sdwa v2, v49, v3 dst_sel:DWORD dst_unused:UNUSED_PAD src0_sel:DWORD src1_sel:WORD_1
	v_fma_f16 v49, v94, v3, v2
	;; [unrolled: 4-line block ×5, first 2 shown]
	v_mul_f16_sdwa v2, v10, v71 dst_sel:DWORD dst_unused:UNUSED_PAD src0_sel:DWORD src1_sel:WORD_1
	v_fma_f16 v96, v38, v71, -v2
	v_mul_f16_sdwa v2, v38, v71 dst_sel:DWORD dst_unused:UNUSED_PAD src0_sel:DWORD src1_sel:WORD_1
	ds_read_u16 v94, v21
	ds_read_u16 v105, v22
	;; [unrolled: 1-line block ×3, first 2 shown]
	v_fma_f16 v107, v10, v71, v2
	ds_read_u16 v2, v17 offset:4508
	ds_read_u16 v3, v17 offset:4606
	s_waitcnt vmcnt(3) lgkmcnt(7)
	v_mul_f16_sdwa v4, v1, v6 dst_sel:DWORD dst_unused:UNUSED_PAD src0_sel:DWORD src1_sel:WORD_1
	v_fma_f16 v122, v46, v6, -v4
	v_mul_f16_sdwa v4, v46, v6 dst_sel:DWORD dst_unused:UNUSED_PAD src0_sel:DWORD src1_sel:WORD_1
	v_fma_f16 v123, v1, v6, v4
	s_waitcnt vmcnt(2) lgkmcnt(6)
	v_mul_f16_sdwa v4, v67, v8 dst_sel:DWORD dst_unused:UNUSED_PAD src0_sel:DWORD src1_sel:WORD_1
	v_fma_f16 v112, v43, v8, -v4
	v_mul_f16_sdwa v4, v43, v8 dst_sel:DWORD dst_unused:UNUSED_PAD src0_sel:DWORD src1_sel:WORD_1
	v_fma_f16 v113, v67, v8, v4
	s_waitcnt lgkmcnt(1)
	v_mul_f16_sdwa v4, v2, v9 dst_sel:DWORD dst_unused:UNUSED_PAD src0_sel:DWORD src1_sel:WORD_1
	v_mul_f16_sdwa v1, v66, v7 dst_sel:DWORD dst_unused:UNUSED_PAD src0_sel:DWORD src1_sel:WORD_1
	v_fma_f16 v114, v42, v9, -v4
	v_mul_f16_sdwa v4, v42, v9 dst_sel:DWORD dst_unused:UNUSED_PAD src0_sel:DWORD src1_sel:WORD_1
	v_fma_f16 v124, v37, v7, -v1
	v_mul_f16_sdwa v1, v37, v7 dst_sel:DWORD dst_unused:UNUSED_PAD src0_sel:DWORD src1_sel:WORD_1
	v_fma_f16 v115, v2, v9, v4
	v_fma_f16 v125, v66, v7, v1
	ds_read_u16 v133, v20
	ds_read_u16 v66, v19
	ds_read_u16 v1, v17 offset:4704
	v_add_f16_e32 v5, v128, v84
	s_waitcnt vmcnt(1)
	v_mul_f16_sdwa v2, v68, v64 dst_sel:DWORD dst_unused:UNUSED_PAD src0_sel:DWORD src1_sel:WORD_1
	v_fma_f16 v67, v41, v64, -v2
	v_mul_f16_sdwa v2, v41, v64 dst_sel:DWORD dst_unused:UNUSED_PAD src0_sel:DWORD src1_sel:WORD_1
	v_fma_f16 v68, v68, v64, v2
	s_waitcnt lgkmcnt(3)
	v_mul_f16_sdwa v2, v3, v65 dst_sel:DWORD dst_unused:UNUSED_PAD src0_sel:DWORD src1_sel:WORD_1
	v_fma_f16 v69, v40, v65, -v2
	v_mul_f16_sdwa v2, v40, v65 dst_sel:DWORD dst_unused:UNUSED_PAD src0_sel:DWORD src1_sel:WORD_1
	v_fma_f16 v70, v3, v65, v2
	v_sub_f16_e32 v8, v129, v57
	s_waitcnt vmcnt(0)
	v_mul_f16_sdwa v2, v72, v82 dst_sel:DWORD dst_unused:UNUSED_PAD src0_sel:DWORD src1_sel:WORD_1
	v_fma_f16 v42, v45, v82, -v2
	v_mul_f16_sdwa v2, v45, v82 dst_sel:DWORD dst_unused:UNUSED_PAD src0_sel:DWORD src1_sel:WORD_1
	v_fma_f16 v45, v72, v82, v2
	s_waitcnt lgkmcnt(0)
	v_mul_f16_sdwa v2, v1, v83 dst_sel:DWORD dst_unused:UNUSED_PAD src0_sel:DWORD src1_sel:WORD_1
	v_fma_f16 v46, v44, v83, -v2
	v_mul_f16_sdwa v2, v44, v83 dst_sel:DWORD dst_unused:UNUSED_PAD src0_sel:DWORD src1_sel:WORD_1
	v_fma_f16 v44, v1, v83, v2
	v_add_f16_e32 v1, v127, v90
	v_add_f16_e32 v9, v130, v131
	v_sub_f16_e32 v39, v86, v87
	v_add_f16_e32 v40, v5, v1
	v_add_f16_e32 v2, v88, v56
	v_sub_f16_e32 v4, v88, v56
	;; [unrolled: 3-line block ×3, first 2 shown]
	v_sub_f16_e32 v57, v1, v9
	v_sub_f16_e32 v5, v9, v5
	v_add_f16_e32 v40, v9, v40
	v_add_f16_e32 v9, v39, v8
	v_sub_f16_e32 v3, v127, v90
	v_sub_f16_e32 v7, v128, v84
	;; [unrolled: 1-line block ×3, first 2 shown]
	v_add_f16_e32 v41, v6, v2
	v_sub_f16_e32 v56, v6, v2
	v_sub_f16_e32 v2, v2, v37
	;; [unrolled: 1-line block ×6, first 2 shown]
	v_add_f16_e32 v4, v9, v4
	v_add_f16_e32 v9, v36, v40
	v_mul_f16_e32 v36, 0x3a52, v57
	v_mul_f16_e32 v57, 0x2b26, v5
	v_add_f16_e32 v1, v38, v7
	v_add_f16_e32 v37, v37, v41
	v_sub_f16_e32 v41, v38, v7
	v_sub_f16_e32 v7, v7, v3
	v_mul_f16_e32 v2, 0x3a52, v2
	v_fma_f16 v5, v5, s14, v36
	v_fma_f16 v57, v43, s4, -v57
	v_fma_f16 v36, v43, s5, -v36
	v_mul_f16_e32 v43, 0x2b26, v6
	v_sub_f16_e32 v38, v3, v38
	v_add_f16_e32 v3, v1, v3
	v_add_f16_e32 v1, v126, v37
	v_mul_f16_e32 v41, 0xb846, v41
	v_mul_f16_e32 v64, 0xb846, v64
	v_fma_f16 v6, v6, s14, v2
	v_fma_f16 v43, v56, s4, -v43
	v_fma_f16 v2, v56, s5, -v2
	v_mul_f16_e32 v56, 0x3b00, v7
	v_fma_f16 v7, v7, s1, -v41
	v_fma_f16 v41, v38, s11, v41
	v_fma_f16 v38, v38, s6, -v56
	v_mul_f16_e32 v56, 0x3b00, v8
	v_fma_f16 v40, v40, s10, v9
	v_fma_f16 v37, v37, s10, v1
	v_fma_f16 v8, v8, s1, -v64
	v_fma_f16 v64, v39, s11, v64
	v_fma_f16 v39, v39, s6, -v56
	v_add_f16_e32 v56, v5, v40
	v_add_f16_e32 v65, v6, v37
	v_add_f16_e32 v5, v57, v40
	v_add_f16_e32 v6, v43, v37
	v_add_f16_e32 v43, v2, v37
	v_fma_f16 v57, v3, s0, v41
	v_fma_f16 v41, v4, s0, v64
	v_fma_f16 v7, v3, s0, v7
	v_fma_f16 v8, v4, s0, v8
	v_fma_f16 v64, v3, s0, v38
	v_add_f16_e32 v40, v36, v40
	v_fma_f16 v71, v4, s0, v39
	v_sub_f16_e32 v2, v65, v57
	v_sub_f16_e32 v3, v43, v64
	;; [unrolled: 1-line block ×3, first 2 shown]
	v_add_f16_e32 v39, v8, v5
	v_add_f16_e32 v4, v7, v6
	v_sub_f16_e32 v5, v6, v7
	v_add_f16_e32 v6, v64, v43
	v_add_f16_e32 v7, v57, v65
	;; [unrolled: 1-line block ×7, first 2 shown]
	v_sub_f16_e32 v40, v40, v71
	v_sub_f16_e32 v71, v134, v93
	;; [unrolled: 1-line block ×3, first 2 shown]
	v_add_f16_e32 v72, v136, v138
	v_add_f16_e32 v73, v137, v81
	v_sub_f16_e32 v82, v138, v136
	v_sub_f16_e32 v81, v81, v137
	v_add_f16_e32 v83, v64, v8
	v_add_f16_e32 v84, v65, v43
	v_add_f16_e32 v36, v41, v56
	v_sub_f16_e32 v41, v56, v41
	v_sub_f16_e32 v56, v132, v103
	;; [unrolled: 1-line block ×9, first 2 shown]
	v_add_f16_e32 v8, v82, v71
	v_add_f16_e32 v72, v72, v83
	;; [unrolled: 1-line block ×4, first 2 shown]
	v_sub_f16_e32 v84, v82, v71
	v_sub_f16_e32 v82, v56, v82
	;; [unrolled: 1-line block ×3, first 2 shown]
	v_add_f16_e32 v56, v8, v56
	v_sub_f16_e32 v90, v81, v55
	v_sub_f16_e32 v81, v57, v81
	;; [unrolled: 1-line block ×3, first 2 shown]
	v_add_f16_e32 v57, v83, v57
	v_add_f16_e32 v8, v66, v73
	v_mul_f16_e32 v66, 0x3a52, v88
	v_mul_f16_e32 v83, 0x2b26, v64
	;; [unrolled: 1-line block ×3, first 2 shown]
	v_fma_f16 v64, v64, s14, v66
	v_fma_f16 v83, v86, s4, -v83
	v_fma_f16 v66, v86, s5, -v66
	v_mul_f16_e32 v86, 0x2b26, v65
	v_mul_f16_e32 v84, 0xb846, v84
	v_fma_f16 v65, v65, s14, v43
	v_fma_f16 v86, v87, s4, -v86
	v_fma_f16 v43, v87, s5, -v43
	v_mul_f16_e32 v87, 0x3b00, v71
	v_add_f16_e32 v35, v35, v72
	v_mul_f16_e32 v88, 0xb846, v90
	v_fma_f16 v71, v71, s1, -v84
	v_fma_f16 v84, v82, s11, v84
	v_fma_f16 v82, v82, s6, -v87
	v_mul_f16_e32 v87, 0x3b00, v55
	v_fma_f16 v72, v72, s10, v35
	v_fma_f16 v73, v73, s10, v8
	v_fma_f16 v55, v55, s1, -v88
	v_fma_f16 v88, v81, s11, v88
	v_fma_f16 v81, v81, s6, -v87
	v_add_f16_e32 v87, v64, v72
	v_add_f16_e32 v90, v65, v73
	;; [unrolled: 1-line block ×6, first 2 shown]
	v_fma_f16 v73, v56, s0, v71
	v_fma_f16 v72, v57, s0, v55
	;; [unrolled: 1-line block ×6, first 2 shown]
	v_add_f16_e32 v56, v81, v66
	v_sub_f16_e32 v71, v83, v82
	v_sub_f16_e32 v57, v64, v72
	v_add_f16_e32 v64, v72, v64
	v_add_f16_e32 v72, v73, v65
	v_sub_f16_e32 v73, v65, v73
	v_sub_f16_e32 v65, v66, v81
	v_add_f16_e32 v81, v82, v83
	v_add_f16_e32 v83, v111, v96
	;; [unrolled: 1-line block ×3, first 2 shown]
	v_sub_f16_e32 v43, v90, v84
	v_add_f16_e32 v82, v84, v90
	v_add_f16_e32 v90, v89, v95
	v_sub_f16_e32 v89, v89, v95
	v_add_f16_e32 v93, v141, v143
	v_sub_f16_e32 v103, v110, v142
	v_add_f16_e32 v104, v88, v83
	v_add_f16_e32 v55, v86, v87
	v_sub_f16_e32 v66, v87, v86
	v_add_f16_e32 v84, v139, v107
	v_sub_f16_e32 v86, v111, v96
	v_sub_f16_e32 v87, v139, v107
	v_add_f16_e32 v95, v142, v110
	v_sub_f16_e32 v108, v88, v83
	v_sub_f16_e32 v111, v83, v93
	;; [unrolled: 1-line block ×3, first 2 shown]
	v_add_f16_e32 v93, v93, v104
	v_add_f16_e32 v104, v103, v89
	v_sub_f16_e32 v85, v140, v85
	v_sub_f16_e32 v96, v143, v141
	v_add_f16_e32 v107, v90, v84
	v_sub_f16_e32 v110, v90, v84
	v_sub_f16_e32 v84, v84, v95
	;; [unrolled: 1-line block ×6, first 2 shown]
	v_add_f16_e32 v87, v104, v87
	v_mul_f16_e32 v104, 0x3a52, v111
	v_mul_f16_e32 v111, 0x2b26, v88
	v_add_f16_e32 v83, v96, v85
	v_add_f16_e32 v95, v95, v107
	v_sub_f16_e32 v107, v96, v85
	v_sub_f16_e32 v85, v85, v86
	v_mul_f16_e32 v84, 0x3a52, v84
	v_fma_f16 v88, v88, s14, v104
	v_fma_f16 v111, v108, s4, -v111
	v_fma_f16 v104, v108, s5, -v104
	v_mul_f16_e32 v108, 0x2b26, v90
	v_sub_f16_e32 v96, v86, v96
	v_mul_f16_e32 v107, 0xb846, v107
	v_fma_f16 v90, v90, s14, v84
	v_fma_f16 v108, v110, s4, -v108
	v_fma_f16 v84, v110, s5, -v84
	v_mul_f16_e32 v110, 0x3b00, v85
	v_add_f16_e32 v86, v83, v86
	v_add_f16_e32 v32, v32, v93
	;; [unrolled: 1-line block ×3, first 2 shown]
	v_mul_f16_e32 v126, 0xb846, v126
	v_fma_f16 v85, v85, s1, -v107
	v_fma_f16 v107, v96, s11, v107
	v_fma_f16 v96, v96, s6, -v110
	v_mul_f16_e32 v110, 0x3b00, v89
	v_fma_f16 v93, v93, s10, v32
	v_fma_f16 v95, v95, s10, v83
	v_fma_f16 v89, v89, s1, -v126
	v_fma_f16 v126, v103, s11, v126
	v_fma_f16 v103, v103, s6, -v110
	v_add_f16_e32 v127, v88, v93
	v_add_f16_e32 v90, v90, v95
	;; [unrolled: 1-line block ×6, first 2 shown]
	v_fma_f16 v128, v86, s0, v107
	v_fma_f16 v111, v87, s0, v126
	;; [unrolled: 1-line block ×6, first 2 shown]
	v_sub_f16_e32 v84, v90, v128
	v_add_f16_e32 v96, v103, v93
	v_sub_f16_e32 v85, v104, v129
	v_sub_f16_e32 v107, v88, v89
	v_add_f16_e32 v108, v89, v88
	v_add_f16_e32 v86, v126, v110
	v_sub_f16_e32 v87, v110, v126
	v_sub_f16_e32 v110, v93, v103
	v_add_f16_e32 v88, v129, v104
	v_add_f16_e32 v89, v128, v90
	v_add_f16_e32 v90, v106, v124
	v_add_f16_e32 v93, v117, v125
	v_sub_f16_e32 v103, v106, v124
	v_sub_f16_e32 v104, v117, v125
	v_add_f16_e32 v106, v109, v122
	v_add_f16_e32 v117, v118, v123
	v_sub_f16_e32 v109, v109, v122
	v_sub_f16_e32 v118, v118, v123
	v_add_f16_e32 v122, v116, v120
	v_add_f16_e32 v123, v119, v121
	;; [unrolled: 4-line block ×3, first 2 shown]
	v_sub_f16_e32 v124, v106, v90
	v_sub_f16_e32 v126, v90, v122
	;; [unrolled: 1-line block ×3, first 2 shown]
	v_add_f16_e32 v90, v116, v109
	v_add_f16_e32 v120, v122, v120
	;; [unrolled: 1-line block ×5, first 2 shown]
	v_sub_f16_e32 v111, v127, v111
	v_sub_f16_e32 v125, v117, v93
	;; [unrolled: 1-line block ×7, first 2 shown]
	v_add_f16_e32 v103, v90, v103
	v_sub_f16_e32 v127, v119, v118
	v_sub_f16_e32 v119, v104, v119
	;; [unrolled: 1-line block ×3, first 2 shown]
	v_add_f16_e32 v104, v122, v104
	v_add_f16_e32 v90, v94, v121
	v_mul_f16_e32 v94, 0x3a52, v126
	v_mul_f16_e32 v122, 0x2b26, v106
	;; [unrolled: 1-line block ×3, first 2 shown]
	v_fma_f16 v106, v106, s14, v94
	v_fma_f16 v122, v124, s4, -v122
	v_fma_f16 v94, v124, s5, -v94
	v_mul_f16_e32 v124, 0x2b26, v117
	v_add_f16_e32 v31, v31, v120
	v_mul_f16_e32 v123, 0xb846, v123
	v_fma_f16 v117, v117, s14, v93
	v_fma_f16 v124, v125, s4, -v124
	v_fma_f16 v93, v125, s5, -v93
	v_mul_f16_e32 v125, 0x3b00, v109
	v_mul_f16_e32 v126, 0xb846, v127
	v_fma_f16 v109, v109, s1, -v123
	v_fma_f16 v123, v116, s11, v123
	v_fma_f16 v116, v116, s6, -v125
	v_mul_f16_e32 v125, 0x3b00, v118
	v_fma_f16 v120, v120, s10, v31
	v_fma_f16 v121, v121, s10, v90
	v_fma_f16 v118, v118, s1, -v126
	v_fma_f16 v126, v119, s11, v126
	v_fma_f16 v119, v119, s6, -v125
	v_add_f16_e32 v125, v106, v120
	v_add_f16_e32 v117, v117, v121
	;; [unrolled: 1-line block ×4, first 2 shown]
	v_fma_f16 v123, v103, s0, v123
	v_fma_f16 v109, v103, s0, v109
	v_add_f16_e32 v120, v94, v120
	v_add_f16_e32 v121, v93, v121
	v_fma_f16 v124, v104, s0, v126
	v_fma_f16 v118, v104, s0, v118
	v_fma_f16 v116, v103, s0, v116
	v_fma_f16 v119, v104, s0, v119
	v_sub_f16_e32 v93, v117, v123
	v_add_f16_e32 v103, v109, v122
	v_sub_f16_e32 v104, v122, v109
	v_add_f16_e32 v109, v123, v117
	v_add_f16_e32 v117, v99, v114
	v_sub_f16_e32 v99, v99, v114
	v_add_f16_e32 v114, v97, v112
	;; [unrolled: 3-line block ×3, first 2 shown]
	v_sub_f16_e32 v100, v100, v115
	v_add_f16_e32 v115, v98, v113
	v_sub_f16_e32 v97, v97, v112
	v_sub_f16_e32 v98, v98, v113
	v_add_f16_e32 v112, v91, v101
	v_add_f16_e32 v113, v92, v102
	v_sub_f16_e32 v91, v101, v91
	v_sub_f16_e32 v92, v102, v92
	v_add_f16_e32 v101, v114, v117
	v_sub_f16_e32 v94, v121, v116
	v_sub_f16_e32 v128, v106, v118
	v_add_f16_e32 v118, v118, v106
	v_add_f16_e32 v106, v116, v121
	;; [unrolled: 1-line block ×3, first 2 shown]
	v_sub_f16_e32 v121, v114, v117
	v_sub_f16_e32 v122, v115, v120
	v_sub_f16_e32 v117, v117, v112
	v_sub_f16_e32 v120, v120, v113
	v_sub_f16_e32 v114, v112, v114
	v_sub_f16_e32 v115, v113, v115
	v_add_f16_e32 v123, v91, v97
	v_add_f16_e32 v101, v112, v101
	;; [unrolled: 1-line block ×4, first 2 shown]
	v_sub_f16_e32 v116, v125, v124
	v_add_f16_e32 v102, v113, v102
	v_sub_f16_e32 v113, v91, v97
	v_sub_f16_e32 v124, v99, v91
	;; [unrolled: 1-line block ×3, first 2 shown]
	v_add_f16_e32 v99, v123, v99
	v_sub_f16_e32 v123, v92, v98
	v_sub_f16_e32 v92, v100, v92
	;; [unrolled: 1-line block ×3, first 2 shown]
	v_add_f16_e32 v100, v112, v100
	v_mul_f16_e32 v112, 0x3a52, v120
	v_mul_f16_e32 v120, 0x2b26, v115
	v_add_f16_e32 v30, v30, v101
	v_add_f16_e32 v91, v105, v102
	v_mul_f16_e32 v105, 0x3a52, v117
	v_mul_f16_e32 v117, 0x2b26, v114
	;; [unrolled: 1-line block ×3, first 2 shown]
	v_fma_f16 v115, v115, s14, v112
	v_fma_f16 v120, v122, s4, -v120
	v_fma_f16 v112, v122, s5, -v112
	v_mul_f16_e32 v122, 0x3b00, v97
	v_fma_f16 v114, v114, s14, v105
	v_fma_f16 v117, v121, s4, -v117
	v_fma_f16 v105, v121, s5, -v105
	v_mul_f16_e32 v121, 0xb846, v123
	v_fma_f16 v97, v97, s1, -v113
	v_fma_f16 v113, v124, s11, v113
	v_fma_f16 v122, v124, s6, -v122
	v_mul_f16_e32 v123, 0x3b00, v98
	v_fma_f16 v101, v101, s10, v30
	v_fma_f16 v102, v102, s10, v91
	v_fma_f16 v98, v98, s1, -v121
	v_fma_f16 v121, v92, s11, v121
	v_fma_f16 v92, v92, s6, -v123
	v_add_f16_e32 v114, v114, v101
	v_add_f16_e32 v115, v115, v102
	;; [unrolled: 1-line block ×6, first 2 shown]
	v_fma_f16 v105, v99, s0, v113
	v_fma_f16 v97, v99, s0, v97
	;; [unrolled: 1-line block ×5, first 2 shown]
	v_sub_f16_e32 v113, v115, v105
	v_sub_f16_e32 v122, v102, v99
	v_add_f16_e32 v99, v99, v102
	v_add_f16_e32 v102, v105, v115
	;; [unrolled: 1-line block ×3, first 2 shown]
	v_sub_f16_e32 v62, v62, v69
	v_add_f16_e32 v69, v59, v67
	v_fma_f16 v98, v100, s0, v98
	v_add_f16_e32 v100, v112, v114
	v_add_f16_e32 v121, v92, v101
	v_sub_f16_e32 v92, v101, v92
	v_sub_f16_e32 v101, v114, v112
	v_add_f16_e32 v112, v61, v70
	v_sub_f16_e32 v61, v61, v70
	v_add_f16_e32 v70, v60, v68
	v_sub_f16_e32 v59, v59, v67
	v_sub_f16_e32 v60, v60, v68
	v_add_f16_e32 v67, v58, v63
	v_add_f16_e32 v68, v52, v53
	v_sub_f16_e32 v58, v63, v58
	v_sub_f16_e32 v52, v53, v52
	v_add_f16_e32 v53, v69, v105
	v_sub_f16_e32 v123, v117, v98
	v_add_f16_e32 v98, v98, v117
	v_add_f16_e32 v117, v97, v120
	v_sub_f16_e32 v97, v120, v97
	v_add_f16_e32 v63, v70, v112
	v_sub_f16_e32 v114, v69, v105
	v_sub_f16_e32 v115, v70, v112
	;; [unrolled: 1-line block ×6, first 2 shown]
	v_add_f16_e32 v120, v58, v59
	v_add_f16_e32 v53, v67, v53
	v_add_f16_e32 v67, v52, v60
	v_add_f16_e32 v63, v68, v63
	v_sub_f16_e32 v68, v58, v59
	v_sub_f16_e32 v58, v62, v58
	;; [unrolled: 1-line block ×3, first 2 shown]
	v_add_f16_e32 v62, v120, v62
	v_sub_f16_e32 v120, v52, v60
	v_sub_f16_e32 v52, v61, v52
	;; [unrolled: 1-line block ×3, first 2 shown]
	v_add_f16_e32 v61, v67, v61
	v_mul_f16_e32 v67, 0x3a52, v112
	v_mul_f16_e32 v112, 0x2b26, v70
	v_add_f16_e32 v28, v28, v53
	v_add_f16_e32 v124, v54, v63
	v_mul_f16_e32 v54, 0x3a52, v105
	v_mul_f16_e32 v105, 0x2b26, v69
	v_mul_f16_e32 v68, 0xb846, v68
	v_fma_f16 v70, v70, s14, v67
	v_fma_f16 v112, v115, s4, -v112
	v_fma_f16 v67, v115, s5, -v67
	v_mul_f16_e32 v115, 0x3b00, v59
	v_fma_f16 v69, v69, s14, v54
	v_fma_f16 v105, v114, s4, -v105
	v_fma_f16 v54, v114, s5, -v54
	v_fma_f16 v59, v59, s1, -v68
	v_fma_f16 v68, v58, s11, v68
	v_fma_f16 v58, v58, s6, -v115
	v_fma_f16 v53, v53, s10, v28
	v_fma_f16 v63, v63, s10, v124
	ds_read_u16 v10, v24
	v_mul_f16_e32 v114, 0xb846, v120
	v_mul_f16_e32 v115, 0x3b00, v60
	v_add_f16_e32 v69, v69, v53
	v_add_f16_e32 v105, v105, v53
	;; [unrolled: 1-line block ×4, first 2 shown]
	v_fma_f16 v58, v62, s0, v58
	v_fma_f16 v60, v60, s1, -v114
	v_fma_f16 v114, v52, s11, v114
	v_fma_f16 v52, v52, s6, -v115
	v_sub_f16_e32 v115, v54, v58
	v_add_f16_e32 v120, v58, v54
	v_add_f16_e32 v54, v51, v46
	;; [unrolled: 1-line block ×3, first 2 shown]
	v_sub_f16_e32 v44, v50, v44
	v_add_f16_e32 v50, v15, v42
	v_add_f16_e32 v70, v70, v63
	;; [unrolled: 1-line block ×3, first 2 shown]
	v_fma_f16 v63, v62, s0, v68
	v_fma_f16 v67, v61, s0, v114
	;; [unrolled: 1-line block ×5, first 2 shown]
	v_sub_f16_e32 v46, v51, v46
	v_add_f16_e32 v51, v49, v45
	v_sub_f16_e32 v15, v15, v42
	v_sub_f16_e32 v42, v49, v45
	v_add_f16_e32 v45, v11, v48
	v_add_f16_e32 v49, v14, v47
	v_sub_f16_e32 v11, v48, v11
	v_sub_f16_e32 v14, v47, v14
	v_add_f16_e32 v47, v50, v54
	v_add_f16_e32 v61, v67, v69
	v_sub_f16_e32 v114, v70, v63
	v_add_f16_e32 v62, v52, v53
	v_sub_f16_e32 v68, v105, v60
	v_add_f16_e32 v60, v60, v105
	v_add_f16_e32 v105, v59, v112
	v_sub_f16_e32 v112, v112, v59
	v_sub_f16_e32 v52, v53, v52
	;; [unrolled: 1-line block ×3, first 2 shown]
	v_add_f16_e32 v125, v63, v70
	v_add_f16_e32 v48, v51, v58
	v_sub_f16_e32 v59, v50, v54
	v_sub_f16_e32 v63, v51, v58
	v_sub_f16_e32 v54, v54, v45
	v_sub_f16_e32 v58, v58, v49
	v_sub_f16_e32 v50, v45, v50
	v_sub_f16_e32 v51, v49, v51
	v_add_f16_e32 v67, v11, v15
	v_add_f16_e32 v45, v45, v47
	;; [unrolled: 1-line block ×4, first 2 shown]
	v_sub_f16_e32 v49, v11, v15
	v_sub_f16_e32 v11, v46, v11
	;; [unrolled: 1-line block ×3, first 2 shown]
	v_add_f16_e32 v46, v67, v46
	v_sub_f16_e32 v67, v14, v42
	v_sub_f16_e32 v14, v44, v14
	;; [unrolled: 1-line block ×3, first 2 shown]
	v_add_f16_e32 v44, v47, v44
	v_mul_f16_e32 v47, 0x3a52, v58
	v_mul_f16_e32 v58, 0x2b26, v51
	s_waitcnt lgkmcnt(0)
	v_add_f16_e32 v129, v10, v48
	v_mul_f16_e32 v10, 0x3a52, v54
	v_mul_f16_e32 v54, 0x2b26, v50
	;; [unrolled: 1-line block ×3, first 2 shown]
	v_fma_f16 v51, v51, s14, v47
	v_fma_f16 v58, v63, s4, -v58
	v_fma_f16 v47, v63, s5, -v47
	v_mul_f16_e32 v63, 0x3b00, v15
	v_add_f16_e32 v26, v26, v45
	v_fma_f16 v50, v50, s14, v10
	v_fma_f16 v54, v59, s4, -v54
	v_fma_f16 v10, v59, s5, -v10
	v_mul_f16_e32 v59, 0xb846, v67
	v_fma_f16 v15, v15, s1, -v49
	v_fma_f16 v49, v11, s11, v49
	v_fma_f16 v11, v11, s6, -v63
	v_mul_f16_e32 v63, 0x3b00, v42
	v_fma_f16 v45, v45, s10, v26
	v_fma_f16 v48, v48, s10, v129
	v_fma_f16 v42, v42, s1, -v59
	v_fma_f16 v59, v14, s11, v59
	v_fma_f16 v14, v14, s6, -v63
	s_waitcnt lgkmcnt(0)
	; wave barrier
	ds_write_b16 v17, v9
	ds_write_b16 v17, v36 offset:98
	ds_write_b16 v17, v37 offset:196
	;; [unrolled: 1-line block ×13, first 2 shown]
	v_lshl_add_u32 v9, v27, 1, 0
	v_add_f16_e32 v50, v50, v45
	v_add_f16_e32 v51, v51, v48
	;; [unrolled: 1-line block ×6, first 2 shown]
	v_fma_f16 v48, v44, s0, v59
	v_fma_f16 v42, v44, s0, v42
	;; [unrolled: 1-line block ×4, first 2 shown]
	ds_write_b16 v9, v32 offset:1372
	ds_write_b16 v9, v95 offset:1470
	;; [unrolled: 1-line block ×7, first 2 shown]
	v_lshl_add_u32 v95, v29, 1, 0
	v_lshl_add_u32 v96, v33, 1, 0
	v_fma_f16 v47, v46, s0, v49
	v_fma_f16 v15, v46, s0, v15
	v_add_f16_e32 v44, v48, v50
	v_add_f16_e32 v46, v14, v10
	v_sub_f16_e32 v131, v45, v11
	v_sub_f16_e32 v49, v54, v42
	v_add_f16_e32 v42, v42, v54
	v_sub_f16_e32 v10, v10, v14
	v_add_f16_e32 v134, v11, v45
	v_sub_f16_e32 v11, v50, v48
	ds_write_b16 v95, v31 offset:2058
	ds_write_b16 v95, v126 offset:2156
	;; [unrolled: 1-line block ×14, first 2 shown]
	v_lshl_add_u32 v92, v34, 1, 0
	v_sub_f16_e32 v130, v51, v47
	v_add_f16_e32 v132, v15, v58
	v_sub_f16_e32 v133, v58, v15
	v_add_f16_e32 v135, v47, v51
	ds_write_b16 v92, v28 offset:3430
	ds_write_b16 v92, v61 offset:3528
	;; [unrolled: 1-line block ×14, first 2 shown]
	s_waitcnt lgkmcnt(0)
	; wave barrier
	s_waitcnt lgkmcnt(0)
	ds_read_u16 v35, v17 offset:3626
	ds_read_u16 v37, v17 offset:4312
	;; [unrolled: 1-line block ×3, first 2 shown]
	ds_read_u16 v42, v21
	ds_read_u16 v51, v22
	;; [unrolled: 1-line block ×3, first 2 shown]
	ds_read_u16 v10, v17 offset:1372
	ds_read_u16 v28, v17 offset:1470
	;; [unrolled: 1-line block ×20, first 2 shown]
	ds_read_u16 v48, v24
	ds_read_u16 v11, v17
	ds_read_u16 v14, v17 offset:686
	ds_read_u16 v32, v17 offset:784
	;; [unrolled: 1-line block ×18, first 2 shown]
	ds_read_u16 v39, v20
	ds_read_u16 v30, v19
	ds_read_u16 v70, v17 offset:4704
	s_waitcnt lgkmcnt(0)
	; wave barrier
	s_waitcnt lgkmcnt(0)
	ds_write_b16 v17, v1
	ds_write_b16 v17, v2 offset:98
	ds_write_b16 v17, v3 offset:196
	;; [unrolled: 1-line block ×48, first 2 shown]
	s_waitcnt lgkmcnt(0)
	; wave barrier
	s_waitcnt lgkmcnt(0)
	s_and_saveexec_b64 s[14:15], vcc
	s_cbranch_execz .LBB0_15
; %bb.14:
	v_mul_i32_i24_e32 v4, 6, v80
	v_mov_b32_e32 v5, 0
	v_lshlrev_b64 v[0:1], 2, v[4:5]
	v_mov_b32_e32 v43, s9
	v_add_co_u32_e32 v8, vcc, s8, v0
	v_addc_co_u32_e32 v9, vcc, v43, v1, vcc
	global_load_dwordx4 v[0:3], v[8:9], off offset:1344
	global_load_dwordx2 v[6:7], v[8:9], off offset:1360
	v_add_co_u32_e32 v8, vcc, s8, v25
	v_mul_i32_i24_e32 v4, 6, v79
	v_mul_i32_i24_e32 v71, -12, v80
	ds_read_u16 v72, v23
	ds_read_u16 v73, v22
	;; [unrolled: 1-line block ×5, first 2 shown]
	ds_read_u16 v19, v17 offset:4704
	ds_read_u16 v80, v17 offset:4606
	;; [unrolled: 1-line block ×20, first 2 shown]
	v_addc_co_u32_e32 v9, vcc, 0, v43, vcc
	v_lshlrev_b64 v[20:21], 2, v[4:5]
	v_add_co_u32_e32 v20, vcc, s8, v20
	v_addc_co_u32_e32 v21, vcc, v43, v21, vcc
	global_load_dwordx4 v[90:93], v[20:21], off offset:1344
	global_load_dwordx2 v[100:101], v[20:21], off offset:1360
	ds_read_u16 v79, v17 offset:1274
	ds_read_u16 v116, v17 offset:1764
	;; [unrolled: 1-line block ×3, first 2 shown]
	v_add_u32_e32 v18, v18, v71
	ds_read_u16 v18, v18
	ds_read_u16 v125, v17 offset:3724
	ds_read_u16 v118, v17 offset:3822
	s_waitcnt vmcnt(3)
	v_lshrrev_b32_e32 v20, 16, v1
	v_lshrrev_b32_e32 v21, 16, v2
	;; [unrolled: 1-line block ×3, first 2 shown]
	s_waitcnt vmcnt(2)
	v_lshrrev_b32_e32 v103, 16, v6
	v_lshrrev_b32_e32 v4, 16, v0
	;; [unrolled: 1-line block ×3, first 2 shown]
	s_waitcnt lgkmcnt(14)
	v_mul_f16_e32 v111, v2, v23
	v_mul_f16_e32 v112, v3, v22
	s_waitcnt lgkmcnt(7)
	v_mul_f16_e32 v113, v6, v102
	v_mul_f16_e32 v22, v25, v22
	;; [unrolled: 1-line block ×6, first 2 shown]
	s_waitcnt lgkmcnt(5)
	v_mul_f16_e32 v110, v0, v79
	v_mul_f16_e32 v79, v4, v79
	;; [unrolled: 1-line block ×3, first 2 shown]
	v_fma_f16 v3, v69, v3, -v22
	v_fma_f16 v2, v68, v2, -v23
	;; [unrolled: 1-line block ×4, first 2 shown]
	v_fma_f16 v4, v67, v4, v110
	v_fma_f16 v25, v69, v25, v112
	v_fma_f16 v67, v67, v0, -v79
	v_fma_f16 v19, v70, v7, -v19
	v_sub_f16_e32 v7, v3, v2
	v_sub_f16_e32 v69, v22, v6
	v_add_f16_e32 v2, v3, v2
	v_add_f16_e32 v6, v22, v6
	v_fma_f16 v21, v68, v21, v111
	v_sub_f16_e32 v68, v67, v19
	v_add_f16_e32 v67, v67, v19
	v_sub_f16_e32 v19, v2, v6
	v_mul_f16_e32 v22, 0x2b26, v19
	v_add_f16_e32 v19, v67, v6
	v_sub_f16_e32 v3, v67, v2
	v_add_f16_e32 v2, v2, v19
	v_sub_f16_e32 v102, v7, v69
	v_mul_f16_e32 v1, v1, v81
	v_add_f16_e32 v19, v48, v2
	v_fma_f16 v107, v70, v107, v108
	v_sub_f16_e32 v79, v68, v7
	v_add_f16_e32 v7, v7, v69
	v_mul_f16_e32 v102, 0xb846, v102
	v_fma_f16 v66, v66, v103, v113
	v_fma_f16 v1, v65, v20, v1
	v_mul_f16_e32 v71, 0x3a52, v3
	v_fma_f16 v3, v3, s7, v22
	v_fma_f16 v48, v2, s10, v19
	v_add_f16_e32 v0, v25, v21
	v_add_f16_e32 v110, v68, v7
	v_fma_f16 v7, v79, s11, v102
	v_add_f16_e32 v20, v1, v66
	v_add_f16_e32 v81, v3, v48
	v_sub_f16_e32 v3, v4, v107
	v_sub_f16_e32 v2, v25, v21
	v_sub_f16_e32 v21, v1, v66
	v_add_f16_e32 v23, v4, v107
	v_fma_f16 v111, v110, s0, v7
	v_sub_f16_e32 v7, v0, v20
	v_sub_f16_e32 v4, v3, v2
	;; [unrolled: 1-line block ×3, first 2 shown]
	v_add_f16_e32 v2, v2, v21
	v_sub_f16_e32 v68, v69, v68
	v_sub_f16_e32 v70, v23, v0
	v_mul_f16_e32 v65, 0x2b26, v7
	v_add_f16_e32 v7, v23, v20
	v_add_f16_e32 v66, v3, v2
	v_mul_f16_e32 v2, 0x3b00, v68
	v_mul_f16_e32 v108, 0x3a52, v70
	v_add_f16_e32 v0, v0, v7
	v_fma_f16 v2, v79, s6, -v2
	v_sub_f16_e32 v20, v20, v23
	v_sub_f16_e32 v67, v6, v67
	v_fma_f16 v69, v110, s0, v2
	v_fma_f16 v2, v20, s5, -v108
	v_fma_f16 v6, v67, s5, -v71
	ds_read_u16 v108, v17 offset:4508
	s_waitcnt lgkmcnt(3)
	v_add_f16_e32 v7, v18, v0
	v_fma_f16 v70, v70, s7, v65
	v_fma_f16 v18, v0, s10, v7
	v_mul_f16_e32 v25, 0xb846, v1
	v_add_f16_e32 v71, v6, v48
	v_sub_f16_e32 v21, v21, v3
	v_fma_f16 v6, v20, s4, -v65
	v_add_f16_e32 v70, v70, v18
	v_add_f16_e32 v23, v2, v18
	v_mul_f16_e32 v3, 0x3b00, v21
	v_add_f16_e32 v20, v6, v18
	v_fma_f16 v18, v21, s1, -v25
	v_fma_f16 v3, v4, s6, -v3
	v_fma_f16 v21, v66, s0, v18
	v_fma_f16 v18, v67, s4, -v22
	v_fma_f16 v1, v4, s11, v25
	v_fma_f16 v4, v66, s0, v3
	v_fma_f16 v6, v68, s1, -v102
	v_add_f16_e32 v22, v18, v48
	v_add_f16_e32 v2, v69, v23
	v_sub_f16_e32 v3, v71, v4
	v_fma_f16 v65, v110, s0, v6
	v_add_f16_e32 v18, v21, v22
	v_sub_f16_e32 v21, v22, v21
	v_sub_f16_e32 v22, v23, v69
	v_add_f16_e32 v23, v4, v71
	s_waitcnt vmcnt(1)
	v_lshrrev_b32_e32 v4, 16, v90
	v_fma_f16 v103, v66, s0, v1
	v_sub_f16_e32 v6, v20, v65
	v_add_f16_e32 v20, v65, v20
	v_lshrrev_b32_e32 v66, 16, v91
	v_lshrrev_b32_e32 v68, 16, v93
	ds_read_u16 v107, v17 offset:1078
	v_mul_f16_e32 v65, v4, v109
	v_add_f16_e32 v0, v111, v70
	v_sub_f16_e32 v1, v81, v103
	v_sub_f16_e32 v25, v70, v111
	v_add_f16_e32 v48, v103, v81
	v_lshrrev_b32_e32 v67, 16, v92
	v_fma_f16 v69, v64, v90, -v65
	s_waitcnt vmcnt(0)
	v_lshrrev_b32_e32 v70, 16, v100
	v_lshrrev_b32_e32 v65, 16, v101
	v_mul_f16_e32 v79, v68, v94
	v_mul_f16_e32 v81, v66, v104
	;; [unrolled: 1-line block ×3, first 2 shown]
	v_fma_f16 v112, v62, v93, -v79
	v_mul_f16_e32 v79, v67, v99
	v_fma_f16 v117, v52, v91, -v81
	v_mul_f16_e32 v81, v70, v105
	v_fma_f16 v71, v63, v101, -v71
	v_fma_f16 v114, v61, v92, -v79
	;; [unrolled: 1-line block ×3, first 2 shown]
	v_sub_f16_e32 v110, v69, v71
	v_sub_f16_e32 v79, v112, v114
	;; [unrolled: 1-line block ×5, first 2 shown]
	v_add_f16_e32 v79, v79, v120
	v_add_f16_e32 v122, v110, v79
	v_mul_f16_e32 v79, v101, v80
	v_fma_f16 v101, v63, v65, v79
	v_mul_f16_e32 v63, v90, v109
	ds_read_u16 v109, v17 offset:980
	v_fma_f16 v90, v64, v4, v63
	v_mul_i32_i24_e32 v4, 6, v78
	v_lshlrev_b64 v[64:65], 2, v[4:5]
	v_mul_f16_e32 v121, 0xb846, v81
	v_add_co_u32_e32 v64, vcc, s8, v64
	v_fma_f16 v81, v115, s11, v121
	v_addc_co_u32_e32 v65, vcc, v43, v65, vcc
	v_fma_f16 v123, v122, s0, v81
	global_load_dwordx4 v[78:81], v[64:65], off offset:1344
	global_load_dwordx2 v[102:103], v[64:65], off offset:1360
	v_mul_f16_e32 v65, v100, v105
	v_mul_f16_e32 v63, v92, v99
	v_fma_f16 v59, v59, v70, v65
	v_mul_f16_e32 v65, v91, v104
	v_add_f16_e32 v69, v69, v71
	v_add_f16_e32 v92, v117, v119
	v_fma_f16 v61, v61, v67, v63
	v_mul_f16_e32 v63, v93, v94
	v_fma_f16 v66, v52, v66, v65
	v_add_f16_e32 v65, v112, v114
	v_add_f16_e32 v94, v69, v92
	v_fma_f16 v62, v62, v68, v63
	v_add_f16_e32 v94, v65, v94
	v_add_f16_e32 v63, v62, v61
	;; [unrolled: 1-line block ×3, first 2 shown]
	v_sub_f16_e32 v71, v69, v65
	v_sub_f16_e32 v93, v65, v92
	v_add_f16_e32 v65, v55, v94
	v_sub_f16_e32 v55, v62, v61
	v_sub_f16_e32 v62, v66, v59
	v_add_f16_e32 v4, v90, v101
	v_sub_f16_e32 v52, v63, v68
	v_sub_f16_e32 v90, v90, v101
	;; [unrolled: 1-line block ×4, first 2 shown]
	v_mul_f16_e32 v70, 0x2b26, v52
	v_sub_f16_e32 v61, v90, v55
	v_mul_f16_e32 v66, 0xb846, v59
	v_add_f16_e32 v55, v55, v62
	v_mul_f16_e32 v67, 0x3a52, v64
	v_fma_f16 v52, v64, s7, v70
	v_add_f16_e32 v64, v4, v68
	v_fma_f16 v59, v61, s11, v66
	v_add_f16_e32 v99, v90, v55
	v_sub_f16_e32 v101, v120, v110
	v_add_f16_e32 v64, v63, v64
	v_fma_f16 v100, v99, s0, v59
	v_mul_f16_e32 v59, 0x3b00, v101
	v_add_f16_e32 v63, v72, v64
	v_fma_f16 v59, v115, s6, -v59
	v_sub_f16_e32 v4, v68, v4
	v_sub_f16_e32 v90, v62, v90
	v_fma_f16 v64, v64, s10, v63
	v_fma_f16 v104, v122, s0, v59
	v_fma_f16 v59, v4, s5, -v67
	v_mul_f16_e32 v62, 0x3b00, v90
	v_fma_f16 v4, v4, s4, -v70
	v_add_f16_e32 v72, v52, v64
	v_mul_f16_e32 v93, 0x2b26, v93
	v_add_f16_e32 v68, v59, v64
	v_sub_f16_e32 v67, v92, v69
	v_fma_f16 v61, v61, s6, -v62
	v_add_f16_e32 v4, v4, v64
	v_fma_f16 v62, v101, s1, -v121
	v_fma_f16 v64, v90, s1, -v66
	ds_read_u16 v111, v17 offset:3136
	v_mul_f16_e32 v91, 0x3a52, v71
	v_fma_f16 v94, v94, s10, v65
	v_fma_f16 v70, v122, s0, v62
	;; [unrolled: 1-line block ×3, first 2 shown]
	v_fma_f16 v64, v67, s4, -v93
	ds_read_u16 v113, v17 offset:2450
	ds_read_u16 v117, v17 offset:3038
	v_fma_f16 v69, v67, s5, -v91
	v_sub_f16_e32 v62, v4, v70
	v_add_f16_e32 v67, v64, v94
	v_add_f16_e32 v66, v70, v4
	;; [unrolled: 1-line block ×3, first 2 shown]
	v_sub_f16_e32 v67, v67, v90
	v_add_f16_e32 v69, v69, v94
	v_fma_f16 v91, v99, s0, v61
	v_add_f16_e32 v52, v123, v72
	v_fma_f16 v71, v71, s7, v93
	v_sub_f16_e32 v61, v69, v91
	v_add_f16_e32 v69, v91, v69
	v_sub_f16_e32 v70, v72, v123
	v_add_f16_e32 v71, v71, v94
	ds_read_u16 v120, v17 offset:2352
	s_waitcnt vmcnt(1)
	v_lshrrev_b32_e32 v4, 16, v78
	s_waitcnt lgkmcnt(5)
	v_mul_f16_e32 v90, v4, v107
	v_fma_f16 v110, v60, v78, -v90
	s_waitcnt vmcnt(0)
	v_lshrrev_b32_e32 v90, 16, v103
	v_lshrrev_b32_e32 v72, 16, v79
	;; [unrolled: 1-line block ×3, first 2 shown]
	v_mul_f16_e32 v91, v90, v108
	v_lshrrev_b32_e32 v94, 16, v80
	v_lshrrev_b32_e32 v112, 16, v102
	v_fma_f16 v114, v58, v103, -v91
	s_waitcnt lgkmcnt(3)
	v_mul_f16_e32 v91, v99, v111
	v_mul_f16_e32 v92, v72, v116
	v_fma_f16 v119, v57, v81, -v91
	s_waitcnt lgkmcnt(2)
	v_mul_f16_e32 v91, v94, v113
	v_fma_f16 v124, v53, v79, -v92
	v_mul_f16_e32 v92, v112, v118
	v_fma_f16 v121, v56, v80, -v91
	v_fma_f16 v126, v54, v102, -v92
	v_sub_f16_e32 v115, v110, v114
	v_sub_f16_e32 v91, v119, v121
	;; [unrolled: 1-line block ×5, first 2 shown]
	v_add_f16_e32 v91, v91, v127
	v_add_f16_e32 v129, v115, v91
	v_mul_f16_e32 v91, v103, v108
	v_fma_f16 v103, v58, v90, v91
	v_mul_f16_e32 v58, v78, v107
	v_fma_f16 v60, v60, v4, v58
	v_mul_i32_i24_e32 v4, 6, v77
	v_lshlrev_b64 v[90:91], 2, v[4:5]
	v_sub_f16_e32 v55, v71, v100
	v_add_f16_e32 v71, v100, v71
	v_mul_f16_e32 v128, 0xb846, v92
	v_add_co_u32_e32 v100, vcc, s8, v90
	v_fma_f16 v92, v122, s11, v128
	v_addc_co_u32_e32 v101, vcc, v43, v91, vcc
	v_fma_f16 v130, v129, s0, v92
	global_load_dwordx4 v[90:93], v[100:101], off offset:1344
	v_add_f16_e32 v59, v104, v68
	v_sub_f16_e32 v68, v68, v104
	global_load_dwordx2 v[104:105], v[100:101], off offset:1360
	v_mul_f16_e32 v58, v80, v113
	v_fma_f16 v56, v56, v94, v58
	v_mul_f16_e32 v58, v81, v111
	v_mul_f16_e32 v80, v102, v118
	;; [unrolled: 1-line block ×3, first 2 shown]
	v_fma_f16 v57, v57, v99, v58
	v_fma_f16 v54, v54, v112, v80
	v_fma_f16 v79, v53, v72, v79
	v_add_f16_e32 v4, v60, v103
	v_add_f16_e32 v58, v57, v56
	v_add_f16_e32 v80, v79, v54
	v_sub_f16_e32 v53, v58, v80
	v_add_f16_e32 v72, v4, v80
	v_sub_f16_e32 v77, v4, v58
	v_mul_f16_e32 v81, 0x2b26, v53
	v_add_f16_e32 v72, v58, v72
	v_mul_f16_e32 v78, 0x3a52, v77
	v_fma_f16 v53, v77, s7, v81
	v_add_f16_e32 v58, v73, v72
	v_add_f16_e32 v77, v110, v114
	;; [unrolled: 1-line block ×3, first 2 shown]
	v_fma_f16 v73, v72, s10, v58
	v_add_f16_e32 v72, v119, v121
	v_add_f16_e32 v107, v77, v101
	;; [unrolled: 1-line block ×3, first 2 shown]
	v_sub_f16_e32 v99, v77, v72
	v_sub_f16_e32 v102, v72, v101
	v_add_f16_e32 v72, v51, v107
	v_sub_f16_e32 v51, v57, v56
	v_sub_f16_e32 v57, v79, v54
	;; [unrolled: 1-line block ×5, first 2 shown]
	v_mul_f16_e32 v79, 0xb846, v54
	v_add_f16_e32 v51, v51, v57
	v_fma_f16 v54, v56, s11, v79
	v_add_f16_e32 v103, v60, v51
	v_sub_f16_e32 v110, v127, v115
	v_fma_f16 v108, v103, s0, v54
	v_mul_f16_e32 v54, 0x3b00, v110
	v_sub_f16_e32 v60, v57, v60
	v_fma_f16 v54, v122, s6, -v54
	v_sub_f16_e32 v4, v80, v4
	v_mul_f16_e32 v57, 0x3b00, v60
	v_mul_f16_e32 v100, 0x3a52, v99
	;; [unrolled: 1-line block ×3, first 2 shown]
	v_fma_f16 v111, v129, s0, v54
	v_fma_f16 v54, v4, s5, -v78
	v_sub_f16_e32 v77, v101, v77
	v_fma_f16 v56, v56, s6, -v57
	v_fma_f16 v4, v4, s4, -v81
	;; [unrolled: 1-line block ×4, first 2 shown]
	ds_read_u16 v123, v17 offset:1666
	ds_read_u16 v118, v17 offset:2254
	v_add_f16_e32 v94, v53, v73
	v_fma_f16 v107, v107, s10, v72
	v_add_f16_e32 v78, v54, v73
	v_fma_f16 v80, v77, s5, -v100
	v_add_f16_e32 v4, v4, v73
	v_fma_f16 v73, v129, s0, v57
	v_fma_f16 v79, v103, s0, v60
	v_fma_f16 v60, v77, s4, -v102
	v_add_f16_e32 v80, v80, v107
	v_fma_f16 v100, v103, s0, v56
	v_sub_f16_e32 v57, v4, v73
	v_add_f16_e32 v77, v60, v107
	v_add_f16_e32 v73, v73, v4
	v_fma_f16 v99, v99, s7, v102
	v_sub_f16_e32 v56, v80, v100
	v_add_f16_e32 v60, v79, v77
	v_sub_f16_e32 v77, v77, v79
	v_add_f16_e32 v79, v100, v80
	ds_read_u16 v110, v17 offset:882
	v_add_f16_e32 v99, v99, v107
	v_add_f16_e32 v54, v111, v78
	s_waitcnt vmcnt(1)
	v_lshrrev_b32_e32 v4, 16, v90
	v_mul_f16_e32 v100, v4, v109
	v_sub_f16_e32 v78, v78, v111
	v_fma_f16 v111, v50, v90, -v100
	s_waitcnt vmcnt(0)
	v_lshrrev_b32_e32 v100, 16, v105
	v_add_f16_e32 v53, v130, v94
	v_sub_f16_e32 v51, v99, v108
	v_sub_f16_e32 v80, v94, v130
	v_add_f16_e32 v81, v108, v99
	v_lshrrev_b32_e32 v94, 16, v91
	v_lshrrev_b32_e32 v108, 16, v93
	v_mul_f16_e32 v101, v100, v106
	v_lshrrev_b32_e32 v99, 16, v92
	v_lshrrev_b32_e32 v112, 16, v104
	v_fma_f16 v113, v45, v105, -v101
	s_waitcnt lgkmcnt(4)
	v_mul_f16_e32 v101, v108, v117
	ds_read_u16 v122, v17 offset:1568
	s_waitcnt lgkmcnt(3)
	v_mul_f16_e32 v102, v94, v123
	ds_read_u16 v115, v17 offset:2940
	v_fma_f16 v116, v49, v93, -v101
	v_mul_f16_e32 v101, v99, v120
	v_fma_f16 v124, v44, v91, -v102
	v_mul_f16_e32 v102, v112, v125
	v_fma_f16 v119, v47, v92, -v101
	v_fma_f16 v126, v46, v104, -v102
	v_sub_f16_e32 v114, v111, v113
	v_sub_f16_e32 v101, v116, v119
	;; [unrolled: 1-line block ×5, first 2 shown]
	v_add_f16_e32 v101, v101, v127
	v_mul_f16_e32 v90, v90, v109
	v_add_f16_e32 v129, v114, v101
	v_mul_f16_e32 v101, v105, v106
	v_fma_f16 v50, v50, v4, v90
	v_mul_i32_i24_e32 v4, 6, v76
	v_fma_f16 v45, v45, v100, v101
	v_lshlrev_b64 v[100:101], 2, v[4:5]
	v_mul_f16_e32 v128, 0xb846, v102
	v_add_co_u32_e32 v106, vcc, s8, v100
	v_fma_f16 v102, v121, s11, v128
	v_addc_co_u32_e32 v107, vcc, v43, v101, vcc
	v_fma_f16 v130, v129, s0, v102
	global_load_dwordx4 v[100:103], v[106:107], off offset:1344
	v_mul_f16_e32 v76, v92, v120
	v_fma_f16 v47, v47, v99, v76
	v_mul_f16_e32 v76, v93, v117
	v_fma_f16 v90, v49, v108, v76
	global_load_dwordx2 v[108:109], v[106:107], off offset:1360
	v_mul_f16_e32 v93, v104, v125
	v_mul_f16_e32 v91, v91, v123
	v_fma_f16 v46, v46, v112, v93
	v_fma_f16 v91, v44, v94, v91
	v_add_f16_e32 v49, v90, v47
	v_add_f16_e32 v93, v91, v46
	;; [unrolled: 1-line block ×3, first 2 shown]
	v_sub_f16_e32 v44, v49, v93
	v_sub_f16_e32 v76, v4, v49
	v_mul_f16_e32 v94, 0x2b26, v44
	v_mul_f16_e32 v92, 0x3a52, v76
	v_fma_f16 v44, v76, s7, v94
	v_add_f16_e32 v76, v4, v93
	v_add_f16_e32 v76, v49, v76
	;; [unrolled: 1-line block ×5, first 2 shown]
	v_fma_f16 v85, v76, s10, v49
	v_add_f16_e32 v76, v116, v119
	v_add_f16_e32 v112, v104, v107
	;; [unrolled: 1-line block ×3, first 2 shown]
	v_sub_f16_e32 v105, v104, v76
	v_sub_f16_e32 v111, v76, v107
	v_add_f16_e32 v76, v42, v112
	v_sub_f16_e32 v42, v90, v47
	v_sub_f16_e32 v46, v91, v46
	;; [unrolled: 1-line block ×5, first 2 shown]
	v_mul_f16_e32 v90, 0xb846, v45
	v_add_f16_e32 v42, v42, v46
	v_fma_f16 v45, v47, s11, v90
	v_add_f16_e32 v91, v50, v42
	v_sub_f16_e32 v114, v127, v114
	v_fma_f16 v113, v91, s0, v45
	v_mul_f16_e32 v45, 0x3b00, v114
	v_sub_f16_e32 v50, v46, v50
	v_fma_f16 v45, v121, s6, -v45
	v_sub_f16_e32 v4, v93, v4
	v_mul_f16_e32 v46, 0x3b00, v50
	v_mul_f16_e32 v106, 0x3a52, v105
	;; [unrolled: 1-line block ×3, first 2 shown]
	v_fma_f16 v116, v129, s0, v45
	v_fma_f16 v45, v4, s5, -v92
	v_sub_f16_e32 v93, v107, v104
	v_fma_f16 v46, v47, s6, -v46
	v_fma_f16 v4, v4, s4, -v94
	;; [unrolled: 1-line block ×4, first 2 shown]
	v_add_f16_e32 v99, v44, v85
	v_fma_f16 v105, v105, s7, v111
	v_fma_f16 v112, v112, s10, v76
	v_add_f16_e32 v92, v45, v85
	v_fma_f16 v104, v93, s5, -v106
	v_add_f16_e32 v4, v4, v85
	v_fma_f16 v85, v129, s0, v47
	v_fma_f16 v90, v91, s0, v50
	v_fma_f16 v50, v93, s4, -v111
	v_add_f16_e32 v105, v105, v112
	v_add_f16_e32 v104, v104, v112
	v_fma_f16 v106, v91, s0, v46
	v_sub_f16_e32 v47, v4, v85
	v_add_f16_e32 v91, v50, v112
	v_add_f16_e32 v85, v85, v4
	v_sub_f16_e32 v42, v105, v113
	v_add_f16_e32 v45, v116, v92
	v_sub_f16_e32 v46, v104, v106
	;; [unrolled: 2-line block ×3, first 2 shown]
	v_sub_f16_e32 v91, v92, v116
	v_add_f16_e32 v92, v106, v104
	v_add_f16_e32 v94, v113, v105
	ds_read_u16 v113, v17 offset:784
	v_add_f16_e32 v44, v130, v99
	s_waitcnt vmcnt(1)
	v_lshrrev_b32_e32 v4, 16, v100
	s_waitcnt lgkmcnt(3)
	v_mul_f16_e32 v104, v4, v110
	v_fma_f16 v114, v41, v100, -v104
	v_sub_f16_e32 v93, v99, v130
	v_lshrrev_b32_e32 v99, 16, v101
	s_waitcnt vmcnt(0)
	v_lshrrev_b32_e32 v104, 16, v109
	v_lshrrev_b32_e32 v112, 16, v103
	v_mul_f16_e32 v105, v104, v98
	v_lshrrev_b32_e32 v111, 16, v102
	v_lshrrev_b32_e32 v116, 16, v108
	v_fma_f16 v117, v37, v109, -v105
	ds_read_u16 v121, v17 offset:2156
	s_waitcnt lgkmcnt(2)
	v_mul_f16_e32 v105, v112, v115
	ds_read_u16 v125, v17 offset:1470
	v_mul_f16_e32 v106, v99, v122
	v_fma_f16 v120, v40, v103, -v105
	v_mul_f16_e32 v105, v111, v118
	v_fma_f16 v126, v36, v101, -v106
	v_mul_f16_e32 v106, v116, v96
	v_mul_f16_e32 v98, v109, v98
	v_fma_f16 v123, v38, v102, -v105
	v_fma_f16 v127, v35, v108, -v106
	v_fma_f16 v37, v37, v104, v98
	v_mul_f16_e32 v98, v100, v110
	v_sub_f16_e32 v105, v120, v123
	v_sub_f16_e32 v128, v126, v127
	v_fma_f16 v41, v41, v4, v98
	v_mul_i32_i24_e32 v4, 6, v16
	v_sub_f16_e32 v119, v114, v117
	v_sub_f16_e32 v106, v105, v128
	v_lshlrev_b64 v[4:5], 2, v[4:5]
	v_sub_f16_e32 v124, v119, v105
	v_mul_f16_e32 v129, 0xb846, v106
	v_add_f16_e32 v105, v105, v128
	v_add_co_u32_e32 v4, vcc, s8, v4
	v_fma_f16 v106, v124, s11, v129
	v_add_f16_e32 v130, v119, v105
	v_addc_co_u32_e32 v5, vcc, v43, v5, vcc
	v_fma_f16 v131, v130, s0, v106
	global_load_dwordx4 v[104:107], v[4:5], off offset:1344
	v_mul_f16_e32 v16, v102, v118
	global_load_dwordx2 v[4:5], v[4:5], off offset:1360
	v_mul_f16_e32 v96, v108, v96
	v_fma_f16 v38, v38, v111, v16
	v_mul_f16_e32 v16, v103, v115
	v_fma_f16 v35, v35, v116, v96
	;; [unrolled: 2-line block ×3, first 2 shown]
	v_fma_f16 v36, v36, v99, v96
	v_add_f16_e32 v43, v41, v37
	v_add_f16_e32 v16, v40, v38
	v_sub_f16_e32 v37, v41, v37
	v_sub_f16_e32 v38, v40, v38
	;; [unrolled: 1-line block ×3, first 2 shown]
	v_add_f16_e32 v96, v36, v35
	v_add_f16_e32 v102, v114, v117
	;; [unrolled: 1-line block ×3, first 2 shown]
	v_sub_f16_e32 v40, v37, v38
	v_sub_f16_e32 v35, v38, v41
	v_add_f16_e32 v36, v38, v41
	v_sub_f16_e32 v38, v128, v119
	v_sub_f16_e32 v98, v43, v16
	v_add_f16_e32 v101, v43, v96
	v_add_f16_e32 v103, v120, v123
	ds_read_u16 v120, v17 offset:1372
	v_add_f16_e32 v112, v102, v110
	v_add_f16_e32 v114, v37, v36
	v_mul_f16_e32 v36, 0x3b00, v38
	v_mul_f16_e32 v100, 0x3a52, v98
	v_sub_f16_e32 v99, v16, v96
	v_add_f16_e32 v16, v16, v101
	v_sub_f16_e32 v108, v102, v103
	v_sub_f16_e32 v111, v103, v110
	v_add_f16_e32 v103, v103, v112
	v_fma_f16 v36, v124, s6, -v36
	v_sub_f16_e32 v43, v96, v43
	v_add_f16_e32 v87, v87, v16
	v_mul_f16_e32 v109, 0x3a52, v108
	v_mul_f16_e32 v111, 0x2b26, v111
	v_add_f16_e32 v39, v39, v103
	v_mul_f16_e32 v112, 0xb846, v35
	v_fma_f16 v116, v130, s0, v36
	v_fma_f16 v36, v43, s5, -v100
	v_sub_f16_e32 v100, v110, v102
	v_sub_f16_e32 v41, v41, v37
	v_mul_f16_e32 v99, 0x2b26, v99
	v_fma_f16 v101, v16, s10, v87
	v_fma_f16 v103, v103, s10, v39
	v_fma_f16 v102, v100, s5, -v109
	v_mul_f16_e32 v37, 0x3b00, v41
	v_fma_f16 v41, v41, s1, -v112
	v_fma_f16 v100, v100, s4, -v111
	v_fma_f16 v98, v98, s7, v99
	v_add_f16_e32 v96, v36, v101
	v_fma_f16 v37, v40, s6, -v37
	v_fma_f16 v43, v43, s4, -v99
	v_fma_f16 v41, v114, s0, v41
	v_add_f16_e32 v100, v100, v103
	v_add_f16_e32 v98, v98, v101
	v_fma_f16 v35, v40, s11, v112
	v_add_f16_e32 v36, v116, v96
	v_add_f16_e32 v102, v102, v103
	;; [unrolled: 3-line block ×3, first 2 shown]
	v_sub_f16_e32 v41, v100, v41
	v_sub_f16_e32 v100, v96, v116
	v_add_f16_e32 v16, v131, v98
	v_fma_f16 v108, v108, s7, v111
	v_sub_f16_e32 v37, v102, v40
	v_fma_f16 v38, v38, s1, -v129
	v_add_f16_e32 v40, v40, v102
	v_sub_f16_e32 v102, v98, v131
	ds_read_u16 v111, v17 offset:686
	v_fma_f16 v99, v130, s0, v38
	v_add_f16_e32 v108, v108, v103
	v_fma_f16 v115, v114, s0, v35
	v_sub_f16_e32 v38, v43, v99
	v_add_f16_e32 v43, v99, v43
	s_waitcnt vmcnt(1)
	v_lshrrev_b32_e32 v96, 16, v104
	s_waitcnt lgkmcnt(4)
	v_mul_f16_e32 v98, v96, v113
	v_fma_f16 v112, v32, v104, -v98
	s_waitcnt vmcnt(0)
	v_lshrrev_b32_e32 v98, 16, v5
	v_lshrrev_b32_e32 v110, 16, v107
	v_mul_f16_e32 v99, v98, v97
	v_sub_f16_e32 v35, v108, v115
	v_add_f16_e32 v103, v115, v108
	v_lshrrev_b32_e32 v108, 16, v105
	v_lshrrev_b32_e32 v109, 16, v106
	;; [unrolled: 1-line block ×3, first 2 shown]
	v_fma_f16 v115, v34, v5, -v99
	v_mul_f16_e32 v99, v110, v95
	v_fma_f16 v117, v33, v107, -v99
	s_waitcnt lgkmcnt(3)
	v_mul_f16_e32 v99, v109, v121
	s_waitcnt lgkmcnt(2)
	v_mul_f16_e32 v122, v108, v125
	v_mul_f16_e32 v123, v114, v89
	v_fma_f16 v118, v29, v106, -v99
	v_fma_f16 v122, v28, v105, -v122
	;; [unrolled: 1-line block ×3, first 2 shown]
	v_sub_f16_e32 v116, v112, v115
	v_sub_f16_e32 v99, v117, v118
	;; [unrolled: 1-line block ×3, first 2 shown]
	v_mul_f16_e32 v5, v5, v97
	v_sub_f16_e32 v119, v116, v99
	v_sub_f16_e32 v126, v99, v124
	v_add_f16_e32 v99, v99, v124
	v_fma_f16 v5, v34, v98, v5
	v_mul_f16_e32 v34, v104, v113
	v_add_f16_e32 v128, v116, v99
	v_fma_f16 v32, v32, v96, v34
	global_load_dwordx4 v[96:99], v[8:9], off offset:1344
	v_mul_f16_e32 v4, v4, v89
	global_load_dwordx2 v[8:9], v[8:9], off offset:1360
	v_fma_f16 v4, v31, v114, v4
	v_mul_f16_e32 v31, v105, v125
	v_mul_f16_e32 v104, v106, v121
	;; [unrolled: 1-line block ×3, first 2 shown]
	v_fma_f16 v28, v28, v108, v31
	v_add_f16_e32 v34, v32, v5
	v_fma_f16 v29, v29, v109, v104
	v_fma_f16 v33, v33, v110, v95
	v_add_f16_e32 v31, v28, v4
	v_add_f16_e32 v107, v112, v115
	;; [unrolled: 1-line block ×7, first 2 shown]
	v_sub_f16_e32 v5, v32, v5
	v_sub_f16_e32 v29, v33, v29
	;; [unrolled: 1-line block ×5, first 2 shown]
	v_add_f16_e32 v95, v95, v105
	v_sub_f16_e32 v109, v107, v108
	v_sub_f16_e32 v113, v108, v112
	v_add_f16_e32 v108, v108, v114
	v_sub_f16_e32 v32, v5, v29
	v_sub_f16_e32 v28, v29, v4
	v_add_f16_e32 v29, v29, v4
	v_sub_f16_e32 v4, v4, v5
	v_mul_f16_e32 v126, 0xb846, v126
	v_mul_f16_e32 v106, 0x3a52, v104
	;; [unrolled: 1-line block ×3, first 2 shown]
	v_add_f16_e32 v88, v88, v95
	v_mul_f16_e32 v110, 0x3a52, v109
	v_add_f16_e32 v30, v30, v108
	v_add_f16_e32 v29, v5, v29
	v_sub_f16_e32 v115, v124, v116
	v_sub_f16_e32 v31, v31, v34
	;; [unrolled: 1-line block ×3, first 2 shown]
	v_mul_f16_e32 v5, 0x3b00, v4
	v_fma_f16 v104, v104, s7, v89
	v_fma_f16 v95, v95, s10, v88
	v_mul_f16_e32 v113, 0x2b26, v113
	v_fma_f16 v108, v108, s10, v30
	v_mul_f16_e32 v28, 0xb846, v28
	v_fma_f16 v34, v31, s5, -v106
	v_fma_f16 v110, v107, s5, -v110
	;; [unrolled: 1-line block ×5, first 2 shown]
	v_fma_f16 v109, v109, s7, v113
	v_fma_f16 v33, v32, s11, v28
	v_add_f16_e32 v110, v110, v108
	v_fma_f16 v5, v29, s0, v5
	v_add_f16_e32 v31, v31, v95
	v_fma_f16 v89, v128, s0, v89
	v_fma_f16 v4, v4, s1, -v28
	v_fma_f16 v28, v107, s4, -v113
	v_add_f16_e32 v104, v104, v95
	v_mul_f16_e32 v116, 0x3b00, v115
	v_add_f16_e32 v34, v34, v95
	v_sub_f16_e32 v32, v110, v5
	v_sub_f16_e32 v95, v31, v89
	v_fma_f16 v4, v29, s0, v4
	v_add_f16_e32 v28, v28, v108
	v_add_f16_e32 v31, v89, v31
	;; [unrolled: 1-line block ×4, first 2 shown]
	v_fma_f16 v33, v29, s0, v33
	v_fma_f16 v116, v119, s6, -v116
	v_add_f16_e32 v29, v4, v28
	v_sub_f16_e32 v28, v28, v4
	v_sub_f16_e32 v114, v109, v33
	v_fma_f16 v116, v128, s0, v116
	v_add_f16_e32 v33, v33, v109
	v_add_f16_e32 v106, v116, v34
	v_sub_f16_e32 v34, v34, v116
	v_fma_f16 v127, v119, s11, v126
	s_waitcnt vmcnt(1)
	v_lshrrev_b32_e32 v4, 16, v96
	v_lshrrev_b32_e32 v5, 16, v97
	s_waitcnt vmcnt(0)
	v_lshrrev_b32_e32 v112, 16, v9
	v_mul_f16_e32 v113, v112, v86
	v_lshrrev_b32_e32 v110, 16, v8
	v_fma_f16 v113, v27, v9, -v113
	v_mul_f16_e32 v9, v9, v86
	v_lshrrev_b32_e32 v107, 16, v98
	v_mul_f16_e32 v122, v110, v82
	v_fma_f16 v9, v27, v112, v9
	s_waitcnt lgkmcnt(0)
	v_mul_f16_e32 v27, v96, v111
	v_lshrrev_b32_e32 v108, 16, v99
	v_mul_f16_e32 v109, v4, v111
	v_mul_f16_e32 v117, v107, v84
	v_mul_f16_e32 v121, v5, v120
	v_fma_f16 v122, v15, v8, -v122
	v_fma_f16 v4, v14, v4, v27
	v_mul_f16_e32 v27, v98, v84
	v_mul_f16_e32 v8, v8, v82
	v_fma_f16 v109, v14, v96, -v109
	v_mul_f16_e32 v116, v108, v83
	v_fma_f16 v117, v24, v98, -v117
	v_fma_f16 v121, v10, v97, -v121
	v_fma_f16 v24, v24, v107, v27
	v_mul_f16_e32 v27, v99, v83
	v_fma_f16 v8, v15, v110, v8
	v_mul_f16_e32 v15, v97, v120
	v_fma_f16 v116, v26, v99, -v116
	v_fma_f16 v26, v26, v108, v27
	v_fma_f16 v5, v10, v5, v15
	v_add_f16_e32 v86, v109, v113
	v_add_f16_e32 v99, v121, v122
	;; [unrolled: 1-line block ×7, first 2 shown]
	v_sub_f16_e32 v4, v4, v9
	v_sub_f16_e32 v9, v26, v24
	;; [unrolled: 1-line block ×9, first 2 shown]
	v_add_f16_e32 v96, v96, v108
	v_sub_f16_e32 v24, v4, v9
	v_sub_f16_e32 v8, v9, v5
	v_add_f16_e32 v9, v9, v5
	v_sub_f16_e32 v124, v118, v123
	v_sub_f16_e32 v83, v14, v27
	v_mul_f16_e32 v15, 0x2b26, v15
	v_mul_f16_e32 v107, 0x2b26, v107
	v_add_f16_e32 v11, v11, v96
	v_mul_f16_e32 v8, 0xb846, v8
	v_add_f16_e32 v9, v4, v9
	v_sub_f16_e32 v109, v123, v115
	v_sub_f16_e32 v86, v99, v86
	;; [unrolled: 1-line block ×3, first 2 shown]
	ds_read_u16 v17, v17
	v_sub_f16_e32 v119, v115, v118
	v_mul_f16_e32 v124, 0xb846, v124
	v_add_f16_e32 v118, v118, v123
	v_mul_f16_e32 v84, 0x3a52, v83
	v_fma_f16 v82, v83, s7, v15
	v_add_f16_e32 v83, v14, v10
	v_mul_f16_e32 v98, 0x3a52, v97
	v_fma_f16 v96, v96, s10, v11
	v_fma_f16 v26, v24, s11, v8
	v_mul_f16_e32 v110, 0x3b00, v109
	v_sub_f16_e32 v10, v10, v14
	v_mul_f16_e32 v5, 0x3b00, v4
	v_fma_f16 v4, v4, s1, -v8
	v_fma_f16 v8, v86, s4, -v107
	v_fma_f16 v125, v119, s11, v124
	v_add_f16_e32 v118, v115, v118
	v_fma_f16 v97, v97, s7, v107
	v_fma_f16 v110, v119, s6, -v110
	v_fma_f16 v14, v10, s5, -v84
	;; [unrolled: 1-line block ×6, first 2 shown]
	v_fma_f16 v4, v9, s0, v4
	v_add_f16_e32 v8, v8, v96
	v_fma_f16 v127, v128, s0, v127
	v_fma_f16 v125, v118, s0, v125
	v_add_f16_e32 v97, v97, v96
	v_fma_f16 v26, v9, s0, v26
	;; [unrolled: 3-line block ×3, first 2 shown]
	v_fma_f16 v15, v118, s0, v15
	v_add_f16_e32 v86, v4, v8
	v_sub_f16_e32 v96, v8, v4
	v_mad_u64_u32 v[8:9], s[0:1], s2, v74, 0
	v_mov_b32_e32 v4, v9
	v_add_f16_e32 v27, v27, v83
	v_sub_f16_e32 v24, v98, v5
	v_add_f16_e32 v98, v5, v98
	v_mad_u64_u32 v[4:5], s[0:1], s3, v74, v[4:5]
	s_waitcnt lgkmcnt(0)
	v_add_f16_e32 v17, v17, v27
	v_mov_b32_e32 v9, v4
	v_mov_b32_e32 v5, s13
	v_add_co_u32_e32 v4, vcc, s12, v12
	v_fma_f16 v27, v27, s10, v17
	v_addc_co_u32_e32 v5, vcc, v5, v13, vcc
	v_lshlrev_b64 v[8:9], 2, v[8:9]
	v_add_f16_e32 v10, v10, v27
	v_add_co_u32_e32 v8, vcc, v4, v8
	v_add_f16_e32 v82, v82, v27
	v_add_f16_e32 v14, v14, v27
	v_sub_f16_e32 v27, v10, v15
	v_add_f16_e32 v15, v15, v10
	v_addc_co_u32_e32 v9, vcc, v5, v9, vcc
	v_pack_b32_f16 v10, v11, v17
	v_add_u32_e32 v11, 0x157, v74
	global_store_dword v[8:9], v10, off
	v_mad_u64_u32 v[8:9], s[0:1], s2, v11, 0
	v_mov_b32_e32 v10, v9
	v_mad_u64_u32 v[10:11], s[0:1], s3, v11, v[10:11]
	v_mov_b32_e32 v9, v10
	v_lshlrev_b64 v[8:9], 2, v[8:9]
	v_add_f16_e32 v83, v125, v82
	v_sub_f16_e32 v108, v97, v26
	v_sub_f16_e32 v82, v82, v125
	v_add_f16_e32 v26, v26, v97
	v_add_co_u32_e32 v8, vcc, v4, v8
	v_addc_co_u32_e32 v9, vcc, v5, v9, vcc
	v_pack_b32_f16 v10, v26, v82
	v_add_u32_e32 v11, 0x2ae, v74
	global_store_dword v[8:9], v10, off
	v_mad_u64_u32 v[8:9], s[0:1], s2, v11, 0
	v_mov_b32_e32 v10, v9
	v_mad_u64_u32 v[10:11], s[0:1], s3, v11, v[10:11]
	v_mov_b32_e32 v9, v10
	v_lshlrev_b64 v[8:9], 2, v[8:9]
	v_add_f16_e32 v84, v110, v14
	v_sub_f16_e32 v14, v14, v110
	v_add_co_u32_e32 v8, vcc, v4, v8
	v_addc_co_u32_e32 v9, vcc, v5, v9, vcc
	v_pack_b32_f16 v10, v98, v14
	v_add_u32_e32 v11, 0x405, v74
	global_store_dword v[8:9], v10, off
	v_mad_u64_u32 v[8:9], s[0:1], s2, v11, 0
	v_mov_b32_e32 v10, v9
	v_mad_u64_u32 v[10:11], s[0:1], s3, v11, v[10:11]
	v_mov_b32_e32 v9, v10
	v_lshlrev_b64 v[8:9], 2, v[8:9]
	v_add_co_u32_e32 v8, vcc, v4, v8
	v_addc_co_u32_e32 v9, vcc, v5, v9, vcc
	v_pack_b32_f16 v10, v96, v15
	v_add_u32_e32 v11, 0x55c, v74
	global_store_dword v[8:9], v10, off
	v_mad_u64_u32 v[8:9], s[0:1], s2, v11, 0
	v_mov_b32_e32 v10, v9
	v_mad_u64_u32 v[10:11], s[0:1], s3, v11, v[10:11]
	v_mov_b32_e32 v9, v10
	v_lshlrev_b64 v[8:9], 2, v[8:9]
	v_add_co_u32_e32 v8, vcc, v4, v8
	v_addc_co_u32_e32 v9, vcc, v5, v9, vcc
	v_pack_b32_f16 v10, v86, v27
	v_add_u32_e32 v11, 0x6b3, v74
	global_store_dword v[8:9], v10, off
	v_mad_u64_u32 v[8:9], s[0:1], s2, v11, 0
	v_mov_b32_e32 v10, v9
	v_mad_u64_u32 v[10:11], s[0:1], s3, v11, v[10:11]
	v_mov_b32_e32 v9, v10
	v_lshlrev_b64 v[8:9], 2, v[8:9]
	v_add_co_u32_e32 v8, vcc, v4, v8
	v_addc_co_u32_e32 v9, vcc, v5, v9, vcc
	v_pack_b32_f16 v10, v24, v84
	v_add_u32_e32 v11, 0x80a, v74
	global_store_dword v[8:9], v10, off
	v_mad_u64_u32 v[8:9], s[4:5], s2, v11, 0
	v_mov_b32_e32 v10, v9
	v_mad_u64_u32 v[10:11], s[4:5], s3, v11, v[10:11]
	v_mov_b32_e32 v9, v10
	v_lshlrev_b64 v[8:9], 2, v[8:9]
	v_add_co_u32_e32 v8, vcc, v4, v8
	v_addc_co_u32_e32 v9, vcc, v5, v9, vcc
	v_pack_b32_f16 v10, v108, v83
	global_store_dword v[8:9], v10, off
	v_mad_u64_u32 v[8:9], s[4:5], s2, v75, 0
	v_mov_b32_e32 v10, v9
	v_mad_u64_u32 v[10:11], s[4:5], s3, v75, v[10:11]
	v_mov_b32_e32 v9, v10
	v_lshlrev_b64 v[8:9], 2, v[8:9]
	v_add_co_u32_e32 v8, vcc, v4, v8
	v_addc_co_u32_e32 v9, vcc, v5, v9, vcc
	v_pack_b32_f16 v10, v30, v88
	v_add_u32_e32 v11, 0x188, v74
	global_store_dword v[8:9], v10, off
	v_mad_u64_u32 v[8:9], s[4:5], s2, v11, 0
	v_mov_b32_e32 v10, v9
	v_mad_u64_u32 v[10:11], s[4:5], s3, v11, v[10:11]
	v_mov_b32_e32 v9, v10
	v_lshlrev_b64 v[8:9], 2, v[8:9]
	v_add_f16_e32 v105, v127, v104
	v_sub_f16_e32 v104, v104, v127
	v_add_co_u32_e32 v8, vcc, v4, v8
	v_addc_co_u32_e32 v9, vcc, v5, v9, vcc
	v_pack_b32_f16 v10, v33, v104
	v_add_u32_e32 v11, 0x2df, v74
	global_store_dword v[8:9], v10, off
	v_mad_u64_u32 v[8:9], s[4:5], s2, v11, 0
	v_mov_b32_e32 v10, v9
	v_mad_u64_u32 v[10:11], s[4:5], s3, v11, v[10:11]
	v_mov_b32_e32 v9, v10
	v_lshlrev_b64 v[8:9], 2, v[8:9]
	v_add_co_u32_e32 v8, vcc, v4, v8
	v_addc_co_u32_e32 v9, vcc, v5, v9, vcc
	v_pack_b32_f16 v10, v89, v34
	v_add_u32_e32 v11, 0x436, v74
	global_store_dword v[8:9], v10, off
	v_mad_u64_u32 v[8:9], s[4:5], s2, v11, 0
	v_mov_b32_e32 v10, v9
	v_mad_u64_u32 v[10:11], s[4:5], s3, v11, v[10:11]
	v_mov_b32_e32 v9, v10
	v_lshlrev_b64 v[8:9], 2, v[8:9]
	;; [unrolled: 10-line block ×19, first 2 shown]
	v_add_co_u32_e32 v8, vcc, v4, v8
	v_addc_co_u32_e32 v9, vcc, v5, v9, vcc
	v_pack_b32_f16 v10, v42, v44
	global_store_dword v[8:9], v10, off
	v_add_u32_e32 v8, 0xc4, v74
	s_mov_b32 s1, 0xbf112a8b
	v_mul_hi_u32 v9, v8, s1
	s_movk_i32 s0, 0x80a
	v_lshrrev_b32_e32 v9, 8, v9
	v_mad_u32_u24 v12, v9, s0, v8
	v_mad_u64_u32 v[8:9], s[4:5], s2, v12, 0
	v_mov_b32_e32 v10, v9
	v_mad_u64_u32 v[10:11], s[4:5], s3, v12, v[10:11]
	v_mov_b32_e32 v9, v10
	v_lshlrev_b64 v[8:9], 2, v[8:9]
	v_add_co_u32_e32 v8, vcc, v4, v8
	v_addc_co_u32_e32 v9, vcc, v5, v9, vcc
	v_pack_b32_f16 v10, v72, v58
	v_add_u32_e32 v11, 0x157, v12
	global_store_dword v[8:9], v10, off
	v_mad_u64_u32 v[8:9], s[4:5], s2, v11, 0
	v_mov_b32_e32 v10, v9
	v_mad_u64_u32 v[10:11], s[4:5], s3, v11, v[10:11]
	v_mov_b32_e32 v9, v10
	v_lshlrev_b64 v[8:9], 2, v[8:9]
	v_add_co_u32_e32 v8, vcc, v4, v8
	v_addc_co_u32_e32 v9, vcc, v5, v9, vcc
	v_pack_b32_f16 v10, v81, v80
	v_add_u32_e32 v11, 0x2ae, v12
	global_store_dword v[8:9], v10, off
	;; [unrolled: 10-line block ×6, first 2 shown]
	v_mad_u64_u32 v[8:9], s[4:5], s2, v11, 0
	v_mov_b32_e32 v10, v9
	v_mad_u64_u32 v[10:11], s[4:5], s3, v11, v[10:11]
	v_mov_b32_e32 v9, v10
	v_lshlrev_b64 v[8:9], 2, v[8:9]
	v_add_co_u32_e32 v8, vcc, v4, v8
	v_addc_co_u32_e32 v9, vcc, v5, v9, vcc
	v_pack_b32_f16 v10, v51, v53
	global_store_dword v[8:9], v10, off
	v_add_u32_e32 v8, 0xf5, v74
	v_mul_hi_u32 v9, v8, s1
	v_lshrrev_b32_e32 v9, 8, v9
	v_mad_u32_u24 v12, v9, s0, v8
	v_mad_u64_u32 v[8:9], s[4:5], s2, v12, 0
	v_mov_b32_e32 v10, v9
	v_mad_u64_u32 v[10:11], s[4:5], s3, v12, v[10:11]
	v_mov_b32_e32 v9, v10
	v_lshlrev_b64 v[8:9], 2, v[8:9]
	v_add_co_u32_e32 v8, vcc, v4, v8
	v_addc_co_u32_e32 v9, vcc, v5, v9, vcc
	v_pack_b32_f16 v10, v65, v63
	v_add_u32_e32 v11, 0x157, v12
	global_store_dword v[8:9], v10, off
	v_mad_u64_u32 v[8:9], s[4:5], s2, v11, 0
	v_mov_b32_e32 v10, v9
	v_mad_u64_u32 v[10:11], s[4:5], s3, v11, v[10:11]
	v_mov_b32_e32 v9, v10
	v_lshlrev_b64 v[8:9], 2, v[8:9]
	v_add_co_u32_e32 v8, vcc, v4, v8
	v_addc_co_u32_e32 v9, vcc, v5, v9, vcc
	v_pack_b32_f16 v10, v71, v70
	v_add_u32_e32 v11, 0x2ae, v12
	global_store_dword v[8:9], v10, off
	;; [unrolled: 10-line block ×6, first 2 shown]
	v_mad_u64_u32 v[8:9], s[4:5], s2, v11, 0
	v_mov_b32_e32 v10, v9
	v_mad_u64_u32 v[10:11], s[4:5], s3, v11, v[10:11]
	v_mov_b32_e32 v9, v10
	v_lshlrev_b64 v[8:9], 2, v[8:9]
	v_add_co_u32_e32 v8, vcc, v4, v8
	v_addc_co_u32_e32 v9, vcc, v5, v9, vcc
	v_pack_b32_f16 v10, v55, v52
	global_store_dword v[8:9], v10, off
	v_add_u32_e32 v8, 0x126, v74
	v_mul_hi_u32 v9, v8, s1
	v_lshrrev_b32_e32 v9, 8, v9
	v_mad_u32_u24 v12, v9, s0, v8
	v_mad_u64_u32 v[8:9], s[0:1], s2, v12, 0
	v_mov_b32_e32 v10, v9
	v_mad_u64_u32 v[10:11], s[0:1], s3, v12, v[10:11]
	v_mov_b32_e32 v9, v10
	v_lshlrev_b64 v[8:9], 2, v[8:9]
	v_add_co_u32_e32 v8, vcc, v4, v8
	v_addc_co_u32_e32 v9, vcc, v5, v9, vcc
	v_pack_b32_f16 v7, v19, v7
	global_store_dword v[8:9], v7, off
	v_add_u32_e32 v7, 0x157, v12
	v_mad_u64_u32 v[8:9], s[0:1], s2, v7, 0
	v_mov_b32_e32 v10, v9
	v_mad_u64_u32 v[10:11], s[0:1], s3, v7, v[10:11]
	v_mov_b32_e32 v9, v10
	v_lshlrev_b64 v[8:9], 2, v[8:9]
	v_add_co_u32_e32 v8, vcc, v4, v8
	v_addc_co_u32_e32 v9, vcc, v5, v9, vcc
	v_pack_b32_f16 v7, v48, v25
	global_store_dword v[8:9], v7, off
	v_add_u32_e32 v7, 0x2ae, v12
	;; [unrolled: 10-line block ×6, first 2 shown]
	v_mad_u64_u32 v[2:3], s[0:1], s2, v7, 0
	v_mov_b32_e32 v6, v3
	v_mad_u64_u32 v[6:7], s[0:1], s3, v7, v[6:7]
	v_mov_b32_e32 v3, v6
	v_lshlrev_b64 v[2:3], 2, v[2:3]
	v_add_co_u32_e32 v2, vcc, v4, v2
	v_addc_co_u32_e32 v3, vcc, v5, v3, vcc
	v_pack_b32_f16 v0, v1, v0
	global_store_dword v[2:3], v0, off
.LBB0_15:
	s_endpgm
	.section	.rodata,"a",@progbits
	.p2align	6, 0x0
	.amdhsa_kernel fft_rtc_fwd_len2401_factors_7_7_7_7_wgs_49_tpt_49_halfLds_half_ip_CI_sbrr_dirReg
		.amdhsa_group_segment_fixed_size 0
		.amdhsa_private_segment_fixed_size 0
		.amdhsa_kernarg_size 88
		.amdhsa_user_sgpr_count 6
		.amdhsa_user_sgpr_private_segment_buffer 1
		.amdhsa_user_sgpr_dispatch_ptr 0
		.amdhsa_user_sgpr_queue_ptr 0
		.amdhsa_user_sgpr_kernarg_segment_ptr 1
		.amdhsa_user_sgpr_dispatch_id 0
		.amdhsa_user_sgpr_flat_scratch_init 0
		.amdhsa_user_sgpr_kernarg_preload_length 0
		.amdhsa_user_sgpr_kernarg_preload_offset 0
		.amdhsa_user_sgpr_private_segment_size 0
		.amdhsa_uses_dynamic_stack 0
		.amdhsa_system_sgpr_private_segment_wavefront_offset 0
		.amdhsa_system_sgpr_workgroup_id_x 1
		.amdhsa_system_sgpr_workgroup_id_y 0
		.amdhsa_system_sgpr_workgroup_id_z 0
		.amdhsa_system_sgpr_workgroup_info 0
		.amdhsa_system_vgpr_workitem_id 0
		.amdhsa_next_free_vgpr 161
		.amdhsa_next_free_sgpr 24
		.amdhsa_accum_offset 164
		.amdhsa_reserve_vcc 1
		.amdhsa_reserve_flat_scratch 0
		.amdhsa_float_round_mode_32 0
		.amdhsa_float_round_mode_16_64 0
		.amdhsa_float_denorm_mode_32 3
		.amdhsa_float_denorm_mode_16_64 3
		.amdhsa_dx10_clamp 1
		.amdhsa_ieee_mode 1
		.amdhsa_fp16_overflow 0
		.amdhsa_tg_split 0
		.amdhsa_exception_fp_ieee_invalid_op 0
		.amdhsa_exception_fp_denorm_src 0
		.amdhsa_exception_fp_ieee_div_zero 0
		.amdhsa_exception_fp_ieee_overflow 0
		.amdhsa_exception_fp_ieee_underflow 0
		.amdhsa_exception_fp_ieee_inexact 0
		.amdhsa_exception_int_div_zero 0
	.end_amdhsa_kernel
	.text
.Lfunc_end0:
	.size	fft_rtc_fwd_len2401_factors_7_7_7_7_wgs_49_tpt_49_halfLds_half_ip_CI_sbrr_dirReg, .Lfunc_end0-fft_rtc_fwd_len2401_factors_7_7_7_7_wgs_49_tpt_49_halfLds_half_ip_CI_sbrr_dirReg
                                        ; -- End function
	.section	.AMDGPU.csdata,"",@progbits
; Kernel info:
; codeLenInByte = 30788
; NumSgprs: 28
; NumVgprs: 161
; NumAgprs: 0
; TotalNumVgprs: 161
; ScratchSize: 0
; MemoryBound: 0
; FloatMode: 240
; IeeeMode: 1
; LDSByteSize: 0 bytes/workgroup (compile time only)
; SGPRBlocks: 3
; VGPRBlocks: 20
; NumSGPRsForWavesPerEU: 28
; NumVGPRsForWavesPerEU: 161
; AccumOffset: 164
; Occupancy: 3
; WaveLimiterHint : 1
; COMPUTE_PGM_RSRC2:SCRATCH_EN: 0
; COMPUTE_PGM_RSRC2:USER_SGPR: 6
; COMPUTE_PGM_RSRC2:TRAP_HANDLER: 0
; COMPUTE_PGM_RSRC2:TGID_X_EN: 1
; COMPUTE_PGM_RSRC2:TGID_Y_EN: 0
; COMPUTE_PGM_RSRC2:TGID_Z_EN: 0
; COMPUTE_PGM_RSRC2:TIDIG_COMP_CNT: 0
; COMPUTE_PGM_RSRC3_GFX90A:ACCUM_OFFSET: 40
; COMPUTE_PGM_RSRC3_GFX90A:TG_SPLIT: 0
	.text
	.p2alignl 6, 3212836864
	.fill 256, 4, 3212836864
	.type	__hip_cuid_3424181c66d26d57,@object ; @__hip_cuid_3424181c66d26d57
	.section	.bss,"aw",@nobits
	.globl	__hip_cuid_3424181c66d26d57
__hip_cuid_3424181c66d26d57:
	.byte	0                               ; 0x0
	.size	__hip_cuid_3424181c66d26d57, 1

	.ident	"AMD clang version 19.0.0git (https://github.com/RadeonOpenCompute/llvm-project roc-6.4.0 25133 c7fe45cf4b819c5991fe208aaa96edf142730f1d)"
	.section	".note.GNU-stack","",@progbits
	.addrsig
	.addrsig_sym __hip_cuid_3424181c66d26d57
	.amdgpu_metadata
---
amdhsa.kernels:
  - .agpr_count:     0
    .args:
      - .actual_access:  read_only
        .address_space:  global
        .offset:         0
        .size:           8
        .value_kind:     global_buffer
      - .offset:         8
        .size:           8
        .value_kind:     by_value
      - .actual_access:  read_only
        .address_space:  global
        .offset:         16
        .size:           8
        .value_kind:     global_buffer
      - .actual_access:  read_only
        .address_space:  global
        .offset:         24
        .size:           8
        .value_kind:     global_buffer
      - .offset:         32
        .size:           8
        .value_kind:     by_value
      - .actual_access:  read_only
        .address_space:  global
        .offset:         40
        .size:           8
        .value_kind:     global_buffer
      - .actual_access:  read_only
        .address_space:  global
        .offset:         48
        .size:           8
        .value_kind:     global_buffer
      - .offset:         56
        .size:           4
        .value_kind:     by_value
      - .actual_access:  read_only
        .address_space:  global
        .offset:         64
        .size:           8
        .value_kind:     global_buffer
      - .actual_access:  read_only
        .address_space:  global
        .offset:         72
        .size:           8
        .value_kind:     global_buffer
      - .address_space:  global
        .offset:         80
        .size:           8
        .value_kind:     global_buffer
    .group_segment_fixed_size: 0
    .kernarg_segment_align: 8
    .kernarg_segment_size: 88
    .language:       OpenCL C
    .language_version:
      - 2
      - 0
    .max_flat_workgroup_size: 49
    .name:           fft_rtc_fwd_len2401_factors_7_7_7_7_wgs_49_tpt_49_halfLds_half_ip_CI_sbrr_dirReg
    .private_segment_fixed_size: 0
    .sgpr_count:     28
    .sgpr_spill_count: 0
    .symbol:         fft_rtc_fwd_len2401_factors_7_7_7_7_wgs_49_tpt_49_halfLds_half_ip_CI_sbrr_dirReg.kd
    .uniform_work_group_size: 1
    .uses_dynamic_stack: false
    .vgpr_count:     161
    .vgpr_spill_count: 0
    .wavefront_size: 64
amdhsa.target:   amdgcn-amd-amdhsa--gfx90a
amdhsa.version:
  - 1
  - 2
...

	.end_amdgpu_metadata
